;; amdgpu-corpus repo=ROCm/rocFFT kind=compiled arch=gfx90a opt=O3
	.text
	.amdgcn_target "amdgcn-amd-amdhsa--gfx90a"
	.amdhsa_code_object_version 6
	.protected	bluestein_single_fwd_len3840_dim1_dp_op_CI_CI ; -- Begin function bluestein_single_fwd_len3840_dim1_dp_op_CI_CI
	.globl	bluestein_single_fwd_len3840_dim1_dp_op_CI_CI
	.p2align	8
	.type	bluestein_single_fwd_len3840_dim1_dp_op_CI_CI,@function
bluestein_single_fwd_len3840_dim1_dp_op_CI_CI: ; @bluestein_single_fwd_len3840_dim1_dp_op_CI_CI
; %bb.0:
	s_load_dwordx4 s[12:15], s[4:5], 0x28
	s_mov_b64 s[42:43], s[2:3]
	s_mov_b64 s[40:41], s[0:1]
	s_add_u32 s40, s40, s7
	v_mov_b32_e32 v188, v0
	s_waitcnt lgkmcnt(0)
	v_mov_b32_e32 v0, s12
	v_mov_b32_e32 v1, s13
	s_mov_b32 s7, 0
	s_addc_u32 s41, s41, 0
	v_cmp_lt_u64_e32 vcc, s[6:7], v[0:1]
	s_and_saveexec_b64 s[0:1], vcc
	s_cbranch_execz .LBB0_2
; %bb.1:
	s_load_dwordx4 s[8:11], s[4:5], 0x0
	s_load_dwordx4 s[16:19], s[4:5], 0x18
	s_load_dwordx2 s[12:13], s[4:5], 0x38
	v_lshlrev_b32_e32 v171, 4, v188
	v_pk_mov_b32 v[0:1], s[6:7], s[6:7] op_sel:[0,1]
	s_waitcnt lgkmcnt(0)
	global_load_dwordx4 v[10:13], v171, s[8:9]
	s_load_dwordx4 s[0:3], s[18:19], 0x0
	v_or_b32_e32 v126, 0x180, v188
	v_mov_b32_e32 v170, 0x1800
	v_or_b32_e32 v181, 0x300, v188
	v_or_b32_e32 v175, 0x480, v188
	s_waitcnt lgkmcnt(0)
	v_mad_u64_u32 v[4:5], s[4:5], s2, v0, 0
	s_load_dwordx4 s[4:7], s[16:17], 0x0
	v_mov_b32_e32 v2, v5
	v_mad_u64_u32 v[2:3], s[2:3], s3, v0, v[2:3]
	v_mov_b32_e32 v5, v2
	v_accvgpr_write_b32 a22, v4             ;  Reload Reuse
	s_waitcnt lgkmcnt(0)
	v_mad_u64_u32 v[2:3], s[2:3], s6, v0, 0
	v_accvgpr_write_b32 a1, v5              ;  Reload Reuse
	v_mov_b32_e32 v4, v3
	v_mad_u64_u32 v[0:1], s[2:3], s7, v0, v[4:5]
	v_mov_b32_e32 v3, v0
	v_mad_u64_u32 v[0:1], s[2:3], s4, v188, 0
	;; [unrolled: 2-line block ×3, first 2 shown]
	v_lshlrev_b64 v[2:3], 4, v[2:3]
	v_mov_b32_e32 v1, v4
	v_add_co_u32_e32 v2, vcc, s14, v2
	v_mov_b32_e32 v4, s15
	v_addc_co_u32_e32 v3, vcc, v4, v3, vcc
	v_lshlrev_b64 v[0:1], 4, v[0:1]
	v_add_co_u32_e32 v8, vcc, v2, v0
	v_addc_co_u32_e32 v9, vcc, v3, v1, vcc
	global_load_dwordx4 v[0:3], v[8:9], off
	v_mad_u64_u32 v[8:9], s[2:3], s4, v170, v[8:9]
	s_mul_i32 s2, s5, 0x1800
	v_add_u32_e32 v9, s2, v9
	v_or_b32_e32 v174, 0x600, v188
	v_or_b32_e32 v187, 0xd800, v171
	s_add_u32 s16, s8, 0xf000
	s_mul_i32 s3, s5, 0xffff3000
	s_addc_u32 s17, s9, 0
	s_sub_i32 s3, s3, s4
	v_or_b32_e32 v190, 0x200, v188
	v_or_b32_e32 v124, 0x380, v188
	;; [unrolled: 1-line block ×4, first 2 shown]
	v_lshlrev_b32_e32 v189, 4, v177
	v_or_b32_e32 v186, 0x8000, v171
	v_or_b32_e32 v185, 0x9800, v171
	;; [unrolled: 1-line block ×10, first 2 shown]
	s_mov_b32 s15, 0xbfe2cf23
	s_mov_b32 s22, 0x9b97f4a8
	;; [unrolled: 1-line block ×6, first 2 shown]
	v_or_b32_e32 v128, 0x80, v188
	s_movk_i32 s26, 0x50
	v_mov_b32_e32 v193, s11
	s_mov_b32 s27, 0xbfebb67a
	s_movk_i32 s36, 0x78
	s_movk_i32 s37, 0xff88
	v_mov_b32_e32 v127, 0
	v_mov_b32_e32 v129, v127
	;; [unrolled: 1-line block ×3, first 2 shown]
	s_mov_b32 s33, 0x8000
	s_waitcnt vmcnt(1)
	buffer_store_dword v10, off, s[40:43], 0 offset:28 ; 4-byte Folded Spill
	s_nop 0
	buffer_store_dword v11, off, s[40:43], 0 offset:32 ; 4-byte Folded Spill
	buffer_store_dword v12, off, s[40:43], 0 offset:36 ; 4-byte Folded Spill
	s_mov_b32 s29, 0x9000
	s_mov_b32 s35, 0xa000
	s_mov_b32 s31, 0xb000
	s_mov_b32 s28, 0xc000
	s_mov_b32 s34, 0xd000
	s_mov_b32 s30, 0xe000
	v_accvgpr_write_b32 a0, v188
	s_waitcnt vmcnt(3)
	v_mul_f64 v[4:5], v[2:3], v[12:13]
	v_fmac_f64_e32 v[4:5], v[0:1], v[10:11]
	v_mul_f64 v[0:1], v[0:1], v[12:13]
	v_fma_f64 v[6:7], v[2:3], v[10:11], -v[0:1]
	ds_write_b128 v171, v[4:7]
	v_lshlrev_b32_e32 v4, 4, v126
	v_accvgpr_write_b32 a23, v13            ;  Reload Reuse
	global_load_dwordx4 v[10:13], v4, s[8:9]
	global_load_dwordx4 v[0:3], v[8:9], off
	v_mad_u64_u32 v[8:9], s[6:7], s4, v170, v[8:9]
	buffer_store_dword v4, off, s[40:43], 0 offset:4 ; 4-byte Folded Spill
	v_add_u32_e32 v9, s2, v9
	s_waitcnt vmcnt(2)
	buffer_store_dword v10, off, s[40:43], 0 offset:76 ; 4-byte Folded Spill
	s_nop 0
	buffer_store_dword v11, off, s[40:43], 0 offset:80 ; 4-byte Folded Spill
	buffer_store_dword v12, off, s[40:43], 0 offset:84 ; 4-byte Folded Spill
	;; [unrolled: 1-line block ×3, first 2 shown]
	s_waitcnt vmcnt(5)
	v_mul_f64 v[4:5], v[2:3], v[12:13]
	v_fmac_f64_e32 v[4:5], v[0:1], v[10:11]
	v_mul_f64 v[0:1], v[0:1], v[12:13]
	v_fma_f64 v[6:7], v[2:3], v[10:11], -v[0:1]
	ds_write_b128 v171, v[4:7] offset:6144
	v_lshlrev_b32_e32 v4, 4, v181
	global_load_dwordx4 v[10:13], v4, s[8:9]
	global_load_dwordx4 v[0:3], v[8:9], off
	v_mad_u64_u32 v[8:9], s[6:7], s4, v170, v[8:9]
	buffer_store_dword v4, off, s[40:43], 0 ; 4-byte Folded Spill
	v_add_u32_e32 v9, s2, v9
	s_waitcnt vmcnt(2)
	buffer_store_dword v10, off, s[40:43], 0 offset:152 ; 4-byte Folded Spill
	s_nop 0
	buffer_store_dword v11, off, s[40:43], 0 offset:156 ; 4-byte Folded Spill
	buffer_store_dword v12, off, s[40:43], 0 offset:160 ; 4-byte Folded Spill
	;; [unrolled: 1-line block ×3, first 2 shown]
	s_waitcnt vmcnt(5)
	v_mul_f64 v[4:5], v[2:3], v[12:13]
	v_fmac_f64_e32 v[4:5], v[0:1], v[10:11]
	v_mul_f64 v[0:1], v[0:1], v[12:13]
	v_fma_f64 v[6:7], v[2:3], v[10:11], -v[0:1]
	ds_write_b128 v171, v[4:7] offset:12288
	v_lshlrev_b32_e32 v4, 4, v175
	global_load_dwordx4 v[10:13], v4, s[8:9]
	global_load_dwordx4 v[0:3], v[8:9], off
	v_mad_u64_u32 v[8:9], s[6:7], s4, v170, v[8:9]
	buffer_store_dword v4, off, s[40:43], 0 offset:48 ; 4-byte Folded Spill
	v_add_u32_e32 v9, s2, v9
	s_waitcnt vmcnt(2)
	buffer_store_dword v10, off, s[40:43], 0 offset:204 ; 4-byte Folded Spill
	s_nop 0
	buffer_store_dword v11, off, s[40:43], 0 offset:208 ; 4-byte Folded Spill
	buffer_store_dword v12, off, s[40:43], 0 offset:212 ; 4-byte Folded Spill
	;; [unrolled: 1-line block ×3, first 2 shown]
	s_waitcnt vmcnt(5)
	v_mul_f64 v[4:5], v[2:3], v[12:13]
	v_fmac_f64_e32 v[4:5], v[0:1], v[10:11]
	v_mul_f64 v[0:1], v[0:1], v[12:13]
	v_fma_f64 v[6:7], v[2:3], v[10:11], -v[0:1]
	ds_write_b128 v171, v[4:7] offset:18432
	v_lshlrev_b32_e32 v4, 4, v174
	global_load_dwordx4 v[10:13], v4, s[8:9]
	global_load_dwordx4 v[0:3], v[8:9], off
	v_mad_u64_u32 v[8:9], s[6:7], s4, v170, v[8:9]
	buffer_store_dword v4, off, s[40:43], 0 offset:24 ; 4-byte Folded Spill
	v_add_u32_e32 v9, s2, v9
	s_waitcnt vmcnt(2)
	buffer_store_dword v10, off, s[40:43], 0 offset:252 ; 4-byte Folded Spill
	s_nop 0
	buffer_store_dword v11, off, s[40:43], 0 offset:256 ; 4-byte Folded Spill
	buffer_store_dword v12, off, s[40:43], 0 offset:260 ; 4-byte Folded Spill
	buffer_store_dword v13, off, s[40:43], 0 offset:264 ; 4-byte Folded Spill
	s_waitcnt vmcnt(5)
	v_mul_f64 v[4:5], v[2:3], v[12:13]
	v_fmac_f64_e32 v[4:5], v[0:1], v[10:11]
	v_mul_f64 v[0:1], v[0:1], v[12:13]
	v_fma_f64 v[6:7], v[2:3], v[10:11], -v[0:1]
	ds_write_b128 v171, v[4:7] offset:24576
	v_or_b32_e32 v4, 0x7800, v171
	global_load_dwordx4 v[10:13], v4, s[8:9]
	global_load_dwordx4 v[0:3], v[8:9], off
	v_mad_u64_u32 v[8:9], s[6:7], s4, v170, v[8:9]
	v_add_u32_e32 v9, s2, v9
	s_waitcnt vmcnt(1)
	buffer_store_dword v10, off, s[40:43], 0 offset:324 ; 4-byte Folded Spill
	s_nop 0
	buffer_store_dword v11, off, s[40:43], 0 offset:328 ; 4-byte Folded Spill
	buffer_store_dword v12, off, s[40:43], 0 offset:332 ; 4-byte Folded Spill
	buffer_store_dword v13, off, s[40:43], 0 offset:336 ; 4-byte Folded Spill
	s_waitcnt vmcnt(4)
	v_mul_f64 v[4:5], v[2:3], v[12:13]
	v_fmac_f64_e32 v[4:5], v[0:1], v[10:11]
	v_mul_f64 v[0:1], v[0:1], v[12:13]
	v_fma_f64 v[6:7], v[2:3], v[10:11], -v[0:1]
	ds_write_b128 v171, v[4:7] offset:30720
	v_or_b32_e32 v4, 0x9000, v171
	global_load_dwordx4 v[10:13], v4, s[8:9]
	global_load_dwordx4 v[0:3], v[8:9], off
	v_mad_u64_u32 v[8:9], s[6:7], s4, v170, v[8:9]
	;; [unrolled: 17-line block ×4, first 2 shown]
	v_add_u32_e32 v9, s2, v9
	s_waitcnt vmcnt(1)
	buffer_store_dword v10, off, s[40:43], 0 offset:420 ; 4-byte Folded Spill
	s_nop 0
	buffer_store_dword v11, off, s[40:43], 0 offset:424 ; 4-byte Folded Spill
	buffer_store_dword v12, off, s[40:43], 0 offset:428 ; 4-byte Folded Spill
	;; [unrolled: 1-line block ×3, first 2 shown]
	s_waitcnt vmcnt(4)
	v_mul_f64 v[4:5], v[2:3], v[12:13]
	v_fmac_f64_e32 v[4:5], v[0:1], v[10:11]
	v_mul_f64 v[0:1], v[0:1], v[12:13]
	v_fma_f64 v[6:7], v[2:3], v[10:11], -v[0:1]
	global_load_dwordx4 v[10:13], v187, s[8:9]
	global_load_dwordx4 v[0:3], v[8:9], off
	ds_write_b128 v171, v[4:7] offset:49152
	s_waitcnt vmcnt(1)
	buffer_store_dword v10, off, s[40:43], 0 offset:460 ; 4-byte Folded Spill
	s_nop 0
	buffer_store_dword v11, off, s[40:43], 0 offset:464 ; 4-byte Folded Spill
	buffer_store_dword v12, off, s[40:43], 0 offset:468 ; 4-byte Folded Spill
	;; [unrolled: 1-line block ×3, first 2 shown]
	s_waitcnt vmcnt(4)
	v_mul_f64 v[4:5], v[2:3], v[12:13]
	v_fmac_f64_e32 v[4:5], v[0:1], v[10:11]
	v_mul_f64 v[0:1], v[0:1], v[12:13]
	v_fma_f64 v[6:7], v[2:3], v[10:11], -v[0:1]
	v_mov_b32_e32 v0, 0xffff3000
	v_mad_u64_u32 v[8:9], s[6:7], s4, v0, v[8:9]
	ds_write_b128 v171, v[4:7] offset:55296
	v_add_u32_e32 v9, s3, v9
	global_load_dwordx4 v[0:3], v[8:9], off
	global_load_dwordx4 v[12:15], v171, s[8:9] offset:2048
	v_mad_u64_u32 v[8:9], s[6:7], s4, v170, v[8:9]
	v_add_u32_e32 v9, s2, v9
	v_mov_b32_e32 v10, 0xffff3000
	s_waitcnt vmcnt(0)
	buffer_store_dword v12, off, s[40:43], 0 offset:52 ; 4-byte Folded Spill
	s_nop 0
	buffer_store_dword v13, off, s[40:43], 0 offset:56 ; 4-byte Folded Spill
	buffer_store_dword v14, off, s[40:43], 0 offset:60 ; 4-byte Folded Spill
	buffer_store_dword v15, off, s[40:43], 0 offset:64 ; 4-byte Folded Spill
	v_mul_f64 v[4:5], v[2:3], v[14:15]
	v_fmac_f64_e32 v[4:5], v[0:1], v[12:13]
	v_mul_f64 v[0:1], v[0:1], v[14:15]
	v_fma_f64 v[6:7], v[2:3], v[12:13], -v[0:1]
	ds_write_b128 v171, v[4:7] offset:2048
	v_lshlrev_b32_e32 v4, 4, v190
	global_load_dwordx4 v[12:15], v4, s[8:9]
	global_load_dwordx4 v[0:3], v[8:9], off
	v_mad_u64_u32 v[8:9], s[6:7], s4, v170, v[8:9]
	buffer_store_dword v4, off, s[40:43], 0 offset:8 ; 4-byte Folded Spill
	v_add_u32_e32 v9, s2, v9
	s_waitcnt vmcnt(2)
	buffer_store_dword v12, off, s[40:43], 0 offset:92 ; 4-byte Folded Spill
	s_nop 0
	buffer_store_dword v13, off, s[40:43], 0 offset:96 ; 4-byte Folded Spill
	buffer_store_dword v14, off, s[40:43], 0 offset:100 ; 4-byte Folded Spill
	buffer_store_dword v15, off, s[40:43], 0 offset:104 ; 4-byte Folded Spill
	s_waitcnt vmcnt(5)
	v_mul_f64 v[4:5], v[2:3], v[14:15]
	v_fmac_f64_e32 v[4:5], v[0:1], v[12:13]
	v_mul_f64 v[0:1], v[0:1], v[14:15]
	v_fma_f64 v[6:7], v[2:3], v[12:13], -v[0:1]
	ds_write_b128 v171, v[4:7] offset:8192
	v_lshlrev_b32_e32 v4, 4, v124
	global_load_dwordx4 v[12:15], v4, s[8:9]
	global_load_dwordx4 v[0:3], v[8:9], off
	v_mad_u64_u32 v[8:9], s[6:7], s4, v170, v[8:9]
	buffer_store_dword v4, off, s[40:43], 0 offset:44 ; 4-byte Folded Spill
	v_add_u32_e32 v9, s2, v9
	s_waitcnt vmcnt(2)
	buffer_store_dword v12, off, s[40:43], 0 offset:128 ; 4-byte Folded Spill
	s_nop 0
	buffer_store_dword v13, off, s[40:43], 0 offset:132 ; 4-byte Folded Spill
	buffer_store_dword v14, off, s[40:43], 0 offset:136 ; 4-byte Folded Spill
	buffer_store_dword v15, off, s[40:43], 0 offset:140 ; 4-byte Folded Spill
	s_waitcnt vmcnt(5)
	v_mul_f64 v[4:5], v[2:3], v[14:15]
	v_fmac_f64_e32 v[4:5], v[0:1], v[12:13]
	v_mul_f64 v[0:1], v[0:1], v[14:15]
	v_fma_f64 v[6:7], v[2:3], v[12:13], -v[0:1]
	ds_write_b128 v171, v[4:7] offset:14336
	v_lshlrev_b32_e32 v4, 4, v176
	global_load_dwordx4 v[12:15], v4, s[8:9]
	global_load_dwordx4 v[0:3], v[8:9], off
	v_mad_u64_u32 v[8:9], s[6:7], s4, v170, v[8:9]
	buffer_store_dword v4, off, s[40:43], 0 offset:12 ; 4-byte Folded Spill
	v_add_u32_e32 v9, s2, v9
	s_waitcnt vmcnt(2)
	buffer_store_dword v12, off, s[40:43], 0 offset:404 ; 4-byte Folded Spill
	s_nop 0
	buffer_store_dword v13, off, s[40:43], 0 offset:408 ; 4-byte Folded Spill
	buffer_store_dword v14, off, s[40:43], 0 offset:412 ; 4-byte Folded Spill
	buffer_store_dword v15, off, s[40:43], 0 offset:416 ; 4-byte Folded Spill
	s_waitcnt vmcnt(5)
	v_mul_f64 v[4:5], v[2:3], v[14:15]
	v_fmac_f64_e32 v[4:5], v[0:1], v[12:13]
	v_mul_f64 v[0:1], v[0:1], v[14:15]
	v_fma_f64 v[6:7], v[2:3], v[12:13], -v[0:1]
	global_load_dwordx4 v[12:15], v189, s[8:9]
	global_load_dwordx4 v[0:3], v[8:9], off
	ds_write_b128 v171, v[4:7] offset:20480
	v_mad_u64_u32 v[8:9], s[6:7], s4, v170, v[8:9]
	v_add_u32_e32 v9, s2, v9
	s_waitcnt vmcnt(1)
	buffer_store_dword v12, off, s[40:43], 0 offset:444 ; 4-byte Folded Spill
	s_nop 0
	buffer_store_dword v13, off, s[40:43], 0 offset:448 ; 4-byte Folded Spill
	buffer_store_dword v14, off, s[40:43], 0 offset:452 ; 4-byte Folded Spill
	buffer_store_dword v15, off, s[40:43], 0 offset:456 ; 4-byte Folded Spill
	s_waitcnt vmcnt(4)
	v_mul_f64 v[4:5], v[2:3], v[14:15]
	v_fmac_f64_e32 v[4:5], v[0:1], v[12:13]
	v_mul_f64 v[0:1], v[0:1], v[14:15]
	v_fma_f64 v[6:7], v[2:3], v[12:13], -v[0:1]
	global_load_dwordx4 v[12:15], v186, s[8:9]
	global_load_dwordx4 v[0:3], v[8:9], off
	ds_write_b128 v171, v[4:7] offset:26624
	v_mad_u64_u32 v[8:9], s[6:7], s4, v170, v[8:9]
	v_add_u32_e32 v9, s2, v9
	s_waitcnt vmcnt(1)
	buffer_store_dword v12, off, s[40:43], 0 offset:476 ; 4-byte Folded Spill
	s_nop 0
	buffer_store_dword v13, off, s[40:43], 0 offset:480 ; 4-byte Folded Spill
	buffer_store_dword v14, off, s[40:43], 0 offset:484 ; 4-byte Folded Spill
	buffer_store_dword v15, off, s[40:43], 0 offset:488 ; 4-byte Folded Spill
	s_waitcnt vmcnt(4)
	;; [unrolled: 16-line block ×6, first 2 shown]
	v_mul_f64 v[4:5], v[2:3], v[14:15]
	v_fmac_f64_e32 v[4:5], v[0:1], v[12:13]
	v_mul_f64 v[0:1], v[0:1], v[14:15]
	v_fma_f64 v[6:7], v[2:3], v[12:13], -v[0:1]
	ds_write_b128 v171, v[4:7] offset:57344
	v_lshlrev_b32_e32 v4, 4, v192
	global_load_dwordx4 v[10:13], v4, s[8:9]
	global_load_dwordx4 v[0:3], v[8:9], off
	v_mad_u64_u32 v[8:9], s[6:7], s4, v170, v[8:9]
	buffer_store_dword v4, off, s[40:43], 0 offset:68 ; 4-byte Folded Spill
	v_add_u32_e32 v9, s2, v9
	s_waitcnt vmcnt(2)
	buffer_store_dword v10, off, s[40:43], 0 offset:308 ; 4-byte Folded Spill
	s_nop 0
	buffer_store_dword v11, off, s[40:43], 0 offset:312 ; 4-byte Folded Spill
	buffer_store_dword v12, off, s[40:43], 0 offset:316 ; 4-byte Folded Spill
	buffer_store_dword v13, off, s[40:43], 0 offset:320 ; 4-byte Folded Spill
	s_waitcnt vmcnt(5)
	v_mul_f64 v[4:5], v[2:3], v[12:13]
	v_fmac_f64_e32 v[4:5], v[0:1], v[10:11]
	v_mul_f64 v[0:1], v[0:1], v[12:13]
	v_fma_f64 v[6:7], v[2:3], v[10:11], -v[0:1]
	ds_write_b128 v171, v[4:7] offset:4096
	v_lshlrev_b32_e32 v4, 4, v191
	global_load_dwordx4 v[10:13], v4, s[8:9]
	global_load_dwordx4 v[0:3], v[8:9], off
	v_mad_u64_u32 v[8:9], s[6:7], s4, v170, v[8:9]
	buffer_store_dword v4, off, s[40:43], 0 offset:108 ; 4-byte Folded Spill
	v_add_u32_e32 v9, s2, v9
	s_waitcnt vmcnt(2)
	buffer_store_dword v10, off, s[40:43], 0 offset:356 ; 4-byte Folded Spill
	s_nop 0
	buffer_store_dword v11, off, s[40:43], 0 offset:360 ; 4-byte Folded Spill
	buffer_store_dword v12, off, s[40:43], 0 offset:364 ; 4-byte Folded Spill
	buffer_store_dword v13, off, s[40:43], 0 offset:368 ; 4-byte Folded Spill
	s_waitcnt vmcnt(5)
	;; [unrolled: 18-line block ×5, first 2 shown]
	v_mul_f64 v[4:5], v[2:3], v[12:13]
	v_fmac_f64_e32 v[4:5], v[0:1], v[10:11]
	v_mul_f64 v[0:1], v[0:1], v[12:13]
	v_fma_f64 v[6:7], v[2:3], v[10:11], -v[0:1]
	ds_write_b128 v171, v[4:7] offset:28672
	v_or_b32_e32 v4, 0x8800, v171
	global_load_dwordx4 v[10:13], v4, s[8:9]
	global_load_dwordx4 v[0:3], v[8:9], off
	v_mad_u64_u32 v[8:9], s[6:7], s4, v170, v[8:9]
	v_add_u32_e32 v9, s2, v9
	s_waitcnt vmcnt(1)
	buffer_store_dword v10, off, s[40:43], 0 offset:292 ; 4-byte Folded Spill
	s_nop 0
	buffer_store_dword v11, off, s[40:43], 0 offset:296 ; 4-byte Folded Spill
	buffer_store_dword v12, off, s[40:43], 0 offset:300 ; 4-byte Folded Spill
	;; [unrolled: 1-line block ×3, first 2 shown]
	s_waitcnt vmcnt(4)
	v_mul_f64 v[4:5], v[2:3], v[12:13]
	v_fmac_f64_e32 v[4:5], v[0:1], v[10:11]
	v_mul_f64 v[0:1], v[0:1], v[12:13]
	v_fma_f64 v[6:7], v[2:3], v[10:11], -v[0:1]
	ds_write_b128 v171, v[4:7] offset:34816
	v_or_b32_e32 v4, 0xa000, v171
	global_load_dwordx4 v[10:13], v4, s[8:9]
	global_load_dwordx4 v[0:3], v[8:9], off
	v_mad_u64_u32 v[8:9], s[6:7], s4, v170, v[8:9]
	v_add_u32_e32 v9, s2, v9
	s_waitcnt vmcnt(1)
	buffer_store_dword v10, off, s[40:43], 0 offset:188 ; 4-byte Folded Spill
	s_nop 0
	buffer_store_dword v11, off, s[40:43], 0 offset:192 ; 4-byte Folded Spill
	buffer_store_dword v12, off, s[40:43], 0 offset:196 ; 4-byte Folded Spill
	;; [unrolled: 1-line block ×3, first 2 shown]
	s_waitcnt vmcnt(4)
	v_mul_f64 v[4:5], v[2:3], v[12:13]
	v_fmac_f64_e32 v[4:5], v[0:1], v[10:11]
	v_mul_f64 v[0:1], v[0:1], v[12:13]
	v_fma_f64 v[6:7], v[2:3], v[10:11], -v[0:1]
	ds_write_b128 v171, v[4:7] offset:40960
	v_or_b32_e32 v4, 0xb800, v171
	global_load_dwordx4 v[10:13], v4, s[8:9]
	global_load_dwordx4 v[0:3], v[8:9], off
	v_mad_u64_u32 v[8:9], s[6:7], s4, v170, v[8:9]
	v_add_u32_e32 v9, s2, v9
	s_mov_b32 s6, 0x372fe950
	s_mov_b32 s7, 0x3fd3c6ef
	;; [unrolled: 1-line block ×3, first 2 shown]
	s_waitcnt vmcnt(1)
	buffer_store_dword v10, off, s[40:43], 0 offset:236 ; 4-byte Folded Spill
	s_nop 0
	buffer_store_dword v11, off, s[40:43], 0 offset:240 ; 4-byte Folded Spill
	buffer_store_dword v12, off, s[40:43], 0 offset:244 ; 4-byte Folded Spill
	buffer_store_dword v13, off, s[40:43], 0 offset:248 ; 4-byte Folded Spill
	s_waitcnt vmcnt(4)
	v_mul_f64 v[4:5], v[2:3], v[12:13]
	v_fmac_f64_e32 v[4:5], v[0:1], v[10:11]
	v_mul_f64 v[0:1], v[0:1], v[12:13]
	v_fma_f64 v[6:7], v[2:3], v[10:11], -v[0:1]
	ds_write_b128 v171, v[4:7] offset:47104
	v_or_b32_e32 v4, 0xd000, v171
	global_load_dwordx4 v[10:13], v4, s[8:9]
	global_load_dwordx4 v[0:3], v[8:9], off
	s_waitcnt vmcnt(1)
	buffer_store_dword v10, off, s[40:43], 0 offset:172 ; 4-byte Folded Spill
	s_nop 0
	buffer_store_dword v11, off, s[40:43], 0 offset:176 ; 4-byte Folded Spill
	buffer_store_dword v12, off, s[40:43], 0 offset:180 ; 4-byte Folded Spill
	;; [unrolled: 1-line block ×3, first 2 shown]
	s_waitcnt vmcnt(4)
	v_mul_f64 v[4:5], v[2:3], v[12:13]
	v_fmac_f64_e32 v[4:5], v[0:1], v[10:11]
	v_mul_f64 v[0:1], v[0:1], v[12:13]
	v_fma_f64 v[6:7], v[2:3], v[10:11], -v[0:1]
	ds_write_b128 v171, v[4:7] offset:53248
	v_mad_u64_u32 v[0:1], s[4:5], s4, v170, v[8:9]
	v_or_b32_e32 v4, 0xe800, v171
	v_add_u32_e32 v1, s2, v1
	global_load_dwordx4 v[4:7], v4, s[8:9]
	s_mov_b32 s4, 0x134454ff
	global_load_dwordx4 v[0:3], v[0:1], off
	s_mov_b32 s5, 0x3fee6f0e
	s_mov_b32 s2, 0x4755a5e
	;; [unrolled: 1-line block ×6, first 2 shown]
	s_waitcnt vmcnt(1)
	v_pk_mov_b32 v[8:9], v[6:7], v[6:7] op_sel:[0,1]
	v_pk_mov_b32 v[6:7], v[4:5], v[4:5] op_sel:[0,1]
	s_waitcnt vmcnt(0)
	v_mul_f64 v[4:5], v[2:3], v[8:9]
	v_fmac_f64_e32 v[4:5], v[0:1], v[6:7]
	v_mul_f64 v[0:1], v[0:1], v[8:9]
	buffer_store_dword v6, off, s[40:43], 0 offset:112 ; 4-byte Folded Spill
	s_nop 0
	buffer_store_dword v7, off, s[40:43], 0 offset:116 ; 4-byte Folded Spill
	buffer_store_dword v8, off, s[40:43], 0 offset:120 ; 4-byte Folded Spill
	;; [unrolled: 1-line block ×3, first 2 shown]
	v_fma_f64 v[6:7], v[2:3], v[6:7], -v[0:1]
	ds_write_b128 v171, v[4:7] offset:59392
	s_waitcnt lgkmcnt(0)
	s_barrier
	ds_read_b128 v[42:45], v171
	ds_read_b128 v[30:33], v171 offset:6144
	ds_read_b128 v[22:25], v171 offset:12288
	;; [unrolled: 1-line block ×29, first 2 shown]
	s_waitcnt lgkmcnt(14)
	v_add_f64 v[0:1], v[42:43], v[22:23]
	v_add_f64 v[0:1], v[0:1], v[34:35]
	;; [unrolled: 1-line block ×5, first 2 shown]
	v_fma_f64 v[0:1], -0.5, v[0:1], v[42:43]
	v_add_f64 v[132:133], v[24:25], -v[48:49]
	v_fma_f64 v[130:131], s[4:5], v[132:133], v[0:1]
	v_add_f64 v[134:135], v[36:37], -v[40:41]
	v_add_f64 v[136:137], v[22:23], -v[34:35]
	;; [unrolled: 1-line block ×3, first 2 shown]
	v_fmac_f64_e32 v[0:1], s[8:9], v[132:133]
	v_fmac_f64_e32 v[130:131], s[2:3], v[134:135]
	v_add_f64 v[136:137], v[136:137], v[138:139]
	v_fmac_f64_e32 v[0:1], s[14:15], v[134:135]
	v_fmac_f64_e32 v[130:131], s[6:7], v[136:137]
	;; [unrolled: 1-line block ×3, first 2 shown]
	v_add_f64 v[136:137], v[22:23], v[46:47]
	v_fmac_f64_e32 v[42:43], -0.5, v[136:137]
	v_fma_f64 v[138:139], s[8:9], v[134:135], v[42:43]
	v_fmac_f64_e32 v[42:43], s[4:5], v[134:135]
	v_fmac_f64_e32 v[138:139], s[2:3], v[132:133]
	;; [unrolled: 1-line block ×3, first 2 shown]
	v_add_f64 v[132:133], v[44:45], v[24:25]
	v_add_f64 v[132:133], v[132:133], v[36:37]
	v_add_f64 v[132:133], v[132:133], v[40:41]
	v_add_f64 v[136:137], v[34:35], -v[22:23]
	v_add_f64 v[140:141], v[38:39], -v[46:47]
	v_add_f64 v[134:135], v[132:133], v[48:49]
	v_add_f64 v[132:133], v[36:37], v[40:41]
	;; [unrolled: 1-line block ×3, first 2 shown]
	v_fma_f64 v[132:133], -0.5, v[132:133], v[44:45]
	v_add_f64 v[22:23], v[22:23], -v[46:47]
	v_fmac_f64_e32 v[138:139], s[6:7], v[136:137]
	v_fmac_f64_e32 v[42:43], s[6:7], v[136:137]
	v_fma_f64 v[136:137], s[8:9], v[22:23], v[132:133]
	v_add_f64 v[34:35], v[34:35], -v[38:39]
	v_add_f64 v[38:39], v[24:25], -v[36:37]
	;; [unrolled: 1-line block ×3, first 2 shown]
	v_fmac_f64_e32 v[132:133], s[4:5], v[22:23]
	v_fmac_f64_e32 v[136:137], s[14:15], v[34:35]
	v_add_f64 v[38:39], v[38:39], v[46:47]
	v_fmac_f64_e32 v[132:133], s[2:3], v[34:35]
	v_fmac_f64_e32 v[136:137], s[6:7], v[38:39]
	;; [unrolled: 1-line block ×3, first 2 shown]
	v_add_f64 v[38:39], v[24:25], v[48:49]
	v_fmac_f64_e32 v[44:45], -0.5, v[38:39]
	v_fma_f64 v[140:141], s[4:5], v[34:35], v[44:45]
	v_fmac_f64_e32 v[44:45], s[8:9], v[34:35]
	v_fmac_f64_e32 v[140:141], s[14:15], v[22:23]
	;; [unrolled: 1-line block ×3, first 2 shown]
	v_add_f64 v[22:23], v[30:31], v[6:7]
	v_add_f64 v[22:23], v[22:23], v[10:11]
	;; [unrolled: 1-line block ×3, first 2 shown]
	v_add_f64 v[24:25], v[36:37], -v[24:25]
	v_add_f64 v[36:37], v[40:41], -v[48:49]
	v_add_f64 v[34:35], v[22:23], v[18:19]
	v_add_f64 v[22:23], v[10:11], v[14:15]
	;; [unrolled: 1-line block ×3, first 2 shown]
	v_fma_f64 v[36:37], -0.5, v[22:23], v[30:31]
	v_add_f64 v[22:23], v[8:9], -v[20:21]
	v_fmac_f64_e32 v[140:141], s[6:7], v[24:25]
	v_fmac_f64_e32 v[44:45], s[6:7], v[24:25]
	v_fma_f64 v[24:25], s[4:5], v[22:23], v[36:37]
	v_add_f64 v[38:39], v[12:13], -v[16:17]
	v_add_f64 v[40:41], v[6:7], -v[10:11]
	;; [unrolled: 1-line block ×3, first 2 shown]
	v_fmac_f64_e32 v[36:37], s[8:9], v[22:23]
	v_fmac_f64_e32 v[24:25], s[2:3], v[38:39]
	v_add_f64 v[40:41], v[40:41], v[46:47]
	v_fmac_f64_e32 v[36:37], s[14:15], v[38:39]
	v_fmac_f64_e32 v[24:25], s[6:7], v[40:41]
	v_fmac_f64_e32 v[36:37], s[6:7], v[40:41]
	v_add_f64 v[40:41], v[6:7], v[18:19]
	v_fmac_f64_e32 v[30:31], -0.5, v[40:41]
	v_fma_f64 v[40:41], s[8:9], v[38:39], v[30:31]
	v_fmac_f64_e32 v[30:31], s[4:5], v[38:39]
	v_fmac_f64_e32 v[40:41], s[2:3], v[22:23]
	;; [unrolled: 1-line block ×3, first 2 shown]
	v_add_f64 v[22:23], v[32:33], v[8:9]
	v_add_f64 v[22:23], v[22:23], v[12:13]
	v_add_f64 v[46:47], v[10:11], -v[6:7]
	v_add_f64 v[48:49], v[14:15], -v[18:19]
	v_add_f64 v[22:23], v[22:23], v[16:17]
	v_add_f64 v[46:47], v[46:47], v[48:49]
	;; [unrolled: 1-line block ×4, first 2 shown]
	v_fma_f64 v[38:39], -0.5, v[22:23], v[32:33]
	v_add_f64 v[6:7], v[6:7], -v[18:19]
	v_fmac_f64_e32 v[40:41], s[6:7], v[46:47]
	v_fmac_f64_e32 v[30:31], s[6:7], v[46:47]
	v_fma_f64 v[46:47], s[8:9], v[6:7], v[38:39]
	v_add_f64 v[10:11], v[10:11], -v[14:15]
	v_add_f64 v[14:15], v[8:9], -v[12:13]
	;; [unrolled: 1-line block ×3, first 2 shown]
	v_fmac_f64_e32 v[38:39], s[4:5], v[6:7]
	v_fmac_f64_e32 v[46:47], s[14:15], v[10:11]
	v_add_f64 v[14:15], v[14:15], v[18:19]
	v_fmac_f64_e32 v[38:39], s[2:3], v[10:11]
	v_fmac_f64_e32 v[46:47], s[6:7], v[14:15]
	;; [unrolled: 1-line block ×3, first 2 shown]
	v_add_f64 v[14:15], v[8:9], v[20:21]
	v_fmac_f64_e32 v[32:33], -0.5, v[14:15]
	v_fma_f64 v[142:143], s[4:5], v[10:11], v[32:33]
	v_add_f64 v[8:9], v[12:13], -v[8:9]
	v_add_f64 v[12:13], v[16:17], -v[20:21]
	v_fmac_f64_e32 v[32:33], s[8:9], v[10:11]
	v_add_f64 v[8:9], v[8:9], v[12:13]
	v_fmac_f64_e32 v[32:33], s[2:3], v[6:7]
	v_fmac_f64_e32 v[32:33], s[6:7], v[8:9]
	v_mul_f64 v[148:149], v[30:31], s[20:21]
	v_mul_f64 v[150:151], v[36:37], s[18:19]
	v_fmac_f64_e32 v[142:143], s[14:15], v[6:7]
	v_mul_f64 v[144:145], v[24:25], s[22:23]
	v_fmac_f64_e32 v[148:149], s[4:5], v[32:33]
	v_fmac_f64_e32 v[150:151], s[2:3], v[38:39]
	v_mul_f64 v[152:153], v[24:25], s[14:15]
	v_fmac_f64_e32 v[142:143], s[6:7], v[8:9]
	v_fmac_f64_e32 v[144:145], s[2:3], v[46:47]
	v_add_f64 v[22:23], v[42:43], v[148:149]
	v_add_f64 v[18:19], v[0:1], v[150:151]
	v_fmac_f64_e32 v[152:153], s[22:23], v[46:47]
	v_mul_f64 v[154:155], v[40:41], s[8:9]
	v_add_f64 v[46:47], v[42:43], -v[148:149]
	v_add_f64 v[42:43], v[0:1], -v[150:151]
	v_add_f64 v[0:1], v[82:83], v[108:109]
	v_mul_f64 v[146:147], v[142:143], s[4:5]
	v_fmac_f64_e32 v[154:155], s[6:7], v[142:143]
	v_mul_f64 v[142:143], v[32:33], s[20:21]
	v_mul_f64 v[156:157], v[38:39], s[18:19]
	v_add_f64 v[0:1], v[0:1], v[112:113]
	v_fmac_f64_e32 v[142:143], s[8:9], v[30:31]
	v_fmac_f64_e32 v[156:157], s[14:15], v[36:37]
	s_waitcnt lgkmcnt(13)
	v_add_f64 v[0:1], v[0:1], v[116:117]
	v_fmac_f64_e32 v[146:147], s[6:7], v[40:41]
	v_add_f64 v[16:17], v[134:135], v[48:49]
	v_add_f64 v[24:25], v[44:45], v[142:143]
	;; [unrolled: 1-line block ×3, first 2 shown]
	v_add_f64 v[40:41], v[134:135], -v[48:49]
	v_add_f64 v[48:49], v[44:45], -v[142:143]
	;; [unrolled: 1-line block ×3, first 2 shown]
	s_waitcnt lgkmcnt(11)
	v_add_f64 v[132:133], v[0:1], v[120:121]
	v_add_f64 v[0:1], v[112:113], v[116:117]
	;; [unrolled: 1-line block ×3, first 2 shown]
	v_add_f64 v[38:39], v[102:103], -v[34:35]
	v_fma_f64 v[0:1], -0.5, v[0:1], v[82:83]
	v_add_f64 v[102:103], v[110:111], -v[122:123]
	v_add_f64 v[10:11], v[130:131], v[144:145]
	v_add_f64 v[6:7], v[138:139], v[146:147]
	;; [unrolled: 1-line block ×3, first 2 shown]
	v_add_f64 v[34:35], v[130:131], -v[144:145]
	v_add_f64 v[30:31], v[138:139], -v[146:147]
	;; [unrolled: 1-line block ×3, first 2 shown]
	v_fma_f64 v[136:137], s[4:5], v[102:103], v[0:1]
	v_add_f64 v[130:131], v[114:115], -v[118:119]
	v_add_f64 v[134:135], v[108:109], -v[112:113]
	;; [unrolled: 1-line block ×3, first 2 shown]
	v_fmac_f64_e32 v[0:1], s[8:9], v[102:103]
	v_fmac_f64_e32 v[136:137], s[2:3], v[130:131]
	v_add_f64 v[134:135], v[134:135], v[138:139]
	v_fmac_f64_e32 v[0:1], s[14:15], v[130:131]
	v_fmac_f64_e32 v[136:137], s[6:7], v[134:135]
	;; [unrolled: 1-line block ×3, first 2 shown]
	v_add_f64 v[134:135], v[108:109], v[120:121]
	v_fmac_f64_e32 v[82:83], -0.5, v[134:135]
	v_fma_f64 v[138:139], s[8:9], v[130:131], v[82:83]
	v_fmac_f64_e32 v[82:83], s[4:5], v[130:131]
	v_fmac_f64_e32 v[138:139], s[2:3], v[102:103]
	;; [unrolled: 1-line block ×3, first 2 shown]
	v_add_f64 v[102:103], v[84:85], v[110:111]
	v_add_f64 v[8:9], v[140:141], v[154:155]
	v_add_f64 v[32:33], v[140:141], -v[154:155]
	v_add_f64 v[134:135], v[112:113], -v[108:109]
	;; [unrolled: 1-line block ×3, first 2 shown]
	v_add_f64 v[102:103], v[102:103], v[114:115]
	v_add_f64 v[134:135], v[134:135], v[140:141]
	;; [unrolled: 1-line block ×3, first 2 shown]
	v_fmac_f64_e32 v[138:139], s[6:7], v[134:135]
	v_fmac_f64_e32 v[82:83], s[6:7], v[134:135]
	v_add_f64 v[134:135], v[102:103], v[122:123]
	v_add_f64 v[102:103], v[114:115], v[118:119]
	v_fma_f64 v[130:131], -0.5, v[102:103], v[84:85]
	v_add_f64 v[102:103], v[108:109], -v[120:121]
	v_fma_f64 v[108:109], s[8:9], v[102:103], v[130:131]
	v_add_f64 v[112:113], v[112:113], -v[116:117]
	v_add_f64 v[116:117], v[110:111], -v[114:115]
	;; [unrolled: 1-line block ×3, first 2 shown]
	v_fmac_f64_e32 v[130:131], s[4:5], v[102:103]
	v_fmac_f64_e32 v[108:109], s[14:15], v[112:113]
	v_add_f64 v[116:117], v[116:117], v[120:121]
	v_fmac_f64_e32 v[130:131], s[2:3], v[112:113]
	v_fmac_f64_e32 v[108:109], s[6:7], v[116:117]
	;; [unrolled: 1-line block ×3, first 2 shown]
	v_add_f64 v[116:117], v[110:111], v[122:123]
	v_fmac_f64_e32 v[84:85], -0.5, v[116:117]
	v_fma_f64 v[120:121], s[4:5], v[112:113], v[84:85]
	v_fmac_f64_e32 v[84:85], s[8:9], v[112:113]
	v_fmac_f64_e32 v[120:121], s[14:15], v[102:103]
	;; [unrolled: 1-line block ×3, first 2 shown]
	v_add_f64 v[102:103], v[104:105], v[86:87]
	v_add_f64 v[110:111], v[114:115], -v[110:111]
	v_add_f64 v[114:115], v[118:119], -v[122:123]
	v_add_f64 v[102:103], v[102:103], v[90:91]
	v_add_f64 v[110:111], v[110:111], v[114:115]
	;; [unrolled: 1-line block ×3, first 2 shown]
	v_fmac_f64_e32 v[120:121], s[6:7], v[110:111]
	v_fmac_f64_e32 v[84:85], s[6:7], v[110:111]
	s_waitcnt lgkmcnt(10)
	v_add_f64 v[110:111], v[102:103], v[98:99]
	v_add_f64 v[102:103], v[90:91], v[94:95]
	v_fma_f64 v[112:113], -0.5, v[102:103], v[104:105]
	v_add_f64 v[102:103], v[88:89], -v[100:101]
	v_fma_f64 v[114:115], s[4:5], v[102:103], v[112:113]
	v_add_f64 v[116:117], v[92:93], -v[96:97]
	v_add_f64 v[118:119], v[86:87], -v[90:91]
	;; [unrolled: 1-line block ×3, first 2 shown]
	v_fmac_f64_e32 v[112:113], s[8:9], v[102:103]
	v_fmac_f64_e32 v[114:115], s[2:3], v[116:117]
	v_add_f64 v[118:119], v[118:119], v[122:123]
	v_fmac_f64_e32 v[112:113], s[14:15], v[116:117]
	v_fmac_f64_e32 v[114:115], s[6:7], v[118:119]
	;; [unrolled: 1-line block ×3, first 2 shown]
	v_add_f64 v[118:119], v[86:87], v[98:99]
	v_fmac_f64_e32 v[104:105], -0.5, v[118:119]
	v_fma_f64 v[118:119], s[8:9], v[116:117], v[104:105]
	v_fmac_f64_e32 v[104:105], s[4:5], v[116:117]
	v_fmac_f64_e32 v[118:119], s[2:3], v[102:103]
	;; [unrolled: 1-line block ×3, first 2 shown]
	v_add_f64 v[102:103], v[106:107], v[88:89]
	v_add_f64 v[102:103], v[102:103], v[92:93]
	v_add_f64 v[122:123], v[90:91], -v[86:87]
	v_add_f64 v[140:141], v[94:95], -v[98:99]
	v_add_f64 v[102:103], v[102:103], v[96:97]
	v_add_f64 v[122:123], v[122:123], v[140:141]
	v_add_f64 v[116:117], v[102:103], v[100:101]
	v_add_f64 v[102:103], v[92:93], v[96:97]
	v_fmac_f64_e32 v[118:119], s[6:7], v[122:123]
	v_fmac_f64_e32 v[104:105], s[6:7], v[122:123]
	v_fma_f64 v[122:123], -0.5, v[102:103], v[106:107]
	v_add_f64 v[86:87], v[86:87], -v[98:99]
	v_fma_f64 v[140:141], s[8:9], v[86:87], v[122:123]
	v_add_f64 v[90:91], v[90:91], -v[94:95]
	v_add_f64 v[94:95], v[88:89], -v[92:93]
	;; [unrolled: 1-line block ×3, first 2 shown]
	v_fmac_f64_e32 v[122:123], s[4:5], v[86:87]
	v_fmac_f64_e32 v[140:141], s[14:15], v[90:91]
	v_add_f64 v[94:95], v[94:95], v[98:99]
	v_fmac_f64_e32 v[122:123], s[2:3], v[90:91]
	v_fmac_f64_e32 v[140:141], s[6:7], v[94:95]
	;; [unrolled: 1-line block ×3, first 2 shown]
	v_add_f64 v[94:95], v[88:89], v[100:101]
	v_fmac_f64_e32 v[106:107], -0.5, v[94:95]
	v_fma_f64 v[142:143], s[4:5], v[90:91], v[106:107]
	v_add_f64 v[88:89], v[92:93], -v[88:89]
	v_add_f64 v[92:93], v[96:97], -v[100:101]
	v_fmac_f64_e32 v[106:107], s[8:9], v[90:91]
	v_fmac_f64_e32 v[142:143], s[14:15], v[86:87]
	v_add_f64 v[88:89], v[88:89], v[92:93]
	v_fmac_f64_e32 v[106:107], s[2:3], v[86:87]
	v_mul_f64 v[144:145], v[114:115], s[22:23]
	v_mul_f64 v[152:153], v[114:115], s[14:15]
	v_fmac_f64_e32 v[142:143], s[6:7], v[88:89]
	v_fmac_f64_e32 v[106:107], s[6:7], v[88:89]
	;; [unrolled: 1-line block ×3, first 2 shown]
	v_mul_f64 v[150:151], v[112:113], s[18:19]
	v_fmac_f64_e32 v[152:153], s[22:23], v[140:141]
	v_mul_f64 v[140:141], v[118:119], s[8:9]
	v_mul_f64 v[146:147], v[142:143], s[4:5]
	v_fmac_f64_e32 v[150:151], s[2:3], v[122:123]
	v_fmac_f64_e32 v[140:141], s[6:7], v[142:143]
	v_mul_f64 v[142:143], v[106:107], s[20:21]
	v_mul_f64 v[122:123], v[122:123], s[18:19]
	v_fmac_f64_e32 v[142:143], s[8:9], v[104:105]
	v_fmac_f64_e32 v[122:123], s[14:15], v[112:113]
	v_mul_f64 v[148:149], v[104:105], s[20:21]
	v_add_f64 v[92:93], v[108:109], v[152:153]
	v_add_f64 v[88:89], v[120:121], v[140:141]
	;; [unrolled: 1-line block ×4, first 2 shown]
	v_add_f64 v[112:113], v[108:109], -v[152:153]
	v_add_f64 v[108:109], v[120:121], -v[140:141]
	;; [unrolled: 1-line block ×4, first 2 shown]
	s_waitcnt lgkmcnt(3)
	v_add_f64 v[122:123], v[70:71], v[74:75]
	v_fmac_f64_e32 v[146:147], s[6:7], v[118:119]
	v_fma_f64 v[130:131], -0.5, v[122:123], v[2:3]
	s_waitcnt lgkmcnt(1)
	v_add_f64 v[122:123], v[68:69], -v[80:81]
	v_add_f64 v[94:95], v[132:133], v[110:111]
	v_add_f64 v[90:91], v[136:137], v[144:145]
	;; [unrolled: 1-line block ×3, first 2 shown]
	v_fmac_f64_e32 v[148:149], s[4:5], v[106:107]
	v_add_f64 v[96:97], v[134:135], v[116:117]
	v_add_f64 v[114:115], v[132:133], -v[110:111]
	v_add_f64 v[110:111], v[136:137], -v[144:145]
	;; [unrolled: 1-line block ×4, first 2 shown]
	v_fma_f64 v[134:135], s[4:5], v[122:123], v[130:131]
	v_add_f64 v[132:133], v[72:73], -v[76:77]
	v_add_f64 v[136:137], v[66:67], -v[70:71]
	;; [unrolled: 1-line block ×3, first 2 shown]
	v_fmac_f64_e32 v[130:131], s[8:9], v[122:123]
	v_fmac_f64_e32 v[134:135], s[2:3], v[132:133]
	v_add_f64 v[136:137], v[136:137], v[138:139]
	v_fmac_f64_e32 v[130:131], s[14:15], v[132:133]
	v_fmac_f64_e32 v[134:135], s[6:7], v[136:137]
	;; [unrolled: 1-line block ×3, first 2 shown]
	v_add_f64 v[136:137], v[66:67], v[78:79]
	v_add_f64 v[102:103], v[82:83], v[148:149]
	;; [unrolled: 1-line block ×3, first 2 shown]
	v_add_f64 v[118:119], v[82:83], -v[148:149]
	v_add_f64 v[82:83], v[0:1], -v[150:151]
	v_add_f64 v[0:1], v[2:3], v[66:67]
	v_fmac_f64_e32 v[2:3], -0.5, v[136:137]
	v_fma_f64 v[138:139], s[8:9], v[132:133], v[2:3]
	v_fmac_f64_e32 v[2:3], s[4:5], v[132:133]
	v_fmac_f64_e32 v[138:139], s[2:3], v[122:123]
	;; [unrolled: 1-line block ×3, first 2 shown]
	v_add_f64 v[122:123], v[4:5], v[68:69]
	v_add_f64 v[122:123], v[122:123], v[72:73]
	;; [unrolled: 1-line block ×4, first 2 shown]
	v_add_f64 v[136:137], v[70:71], -v[66:67]
	v_add_f64 v[140:141], v[74:75], -v[78:79]
	v_add_f64 v[132:133], v[122:123], v[80:81]
	v_add_f64 v[122:123], v[72:73], v[76:77]
	;; [unrolled: 1-line block ×4, first 2 shown]
	v_fma_f64 v[122:123], -0.5, v[122:123], v[4:5]
	v_add_f64 v[66:67], v[66:67], -v[78:79]
	v_add_f64 v[0:1], v[0:1], v[78:79]
	v_fmac_f64_e32 v[138:139], s[6:7], v[136:137]
	v_fmac_f64_e32 v[2:3], s[6:7], v[136:137]
	v_fma_f64 v[136:137], s[8:9], v[66:67], v[122:123]
	v_add_f64 v[70:71], v[70:71], -v[74:75]
	v_add_f64 v[74:75], v[68:69], -v[72:73]
	;; [unrolled: 1-line block ×3, first 2 shown]
	v_fmac_f64_e32 v[122:123], s[4:5], v[66:67]
	v_fmac_f64_e32 v[136:137], s[14:15], v[70:71]
	v_add_f64 v[74:75], v[74:75], v[78:79]
	v_fmac_f64_e32 v[122:123], s[2:3], v[70:71]
	v_fmac_f64_e32 v[136:137], s[6:7], v[74:75]
	;; [unrolled: 1-line block ×3, first 2 shown]
	v_add_f64 v[74:75], v[68:69], v[80:81]
	v_fmac_f64_e32 v[4:5], -0.5, v[74:75]
	v_fma_f64 v[140:141], s[4:5], v[70:71], v[4:5]
	v_fmac_f64_e32 v[4:5], s[8:9], v[70:71]
	v_fmac_f64_e32 v[140:141], s[14:15], v[66:67]
	;; [unrolled: 1-line block ×3, first 2 shown]
	v_add_f64 v[66:67], v[26:27], v[50:51]
	v_add_f64 v[66:67], v[66:67], v[54:55]
	;; [unrolled: 1-line block ×3, first 2 shown]
	v_add_f64 v[68:69], v[72:73], -v[68:69]
	v_add_f64 v[72:73], v[76:77], -v[80:81]
	s_waitcnt lgkmcnt(0)
	v_add_f64 v[70:71], v[66:67], v[62:63]
	v_add_f64 v[66:67], v[54:55], v[58:59]
	;; [unrolled: 1-line block ×3, first 2 shown]
	v_fma_f64 v[72:73], -0.5, v[66:67], v[26:27]
	v_add_f64 v[66:67], v[52:53], -v[64:65]
	v_fmac_f64_e32 v[140:141], s[6:7], v[68:69]
	v_fmac_f64_e32 v[4:5], s[6:7], v[68:69]
	v_fma_f64 v[68:69], s[4:5], v[66:67], v[72:73]
	v_add_f64 v[74:75], v[56:57], -v[60:61]
	v_add_f64 v[76:77], v[50:51], -v[54:55]
	;; [unrolled: 1-line block ×3, first 2 shown]
	v_fmac_f64_e32 v[72:73], s[8:9], v[66:67]
	v_fmac_f64_e32 v[68:69], s[2:3], v[74:75]
	v_add_f64 v[76:77], v[76:77], v[78:79]
	v_fmac_f64_e32 v[72:73], s[14:15], v[74:75]
	v_fmac_f64_e32 v[68:69], s[6:7], v[76:77]
	v_fmac_f64_e32 v[72:73], s[6:7], v[76:77]
	v_add_f64 v[76:77], v[50:51], v[62:63]
	v_fmac_f64_e32 v[26:27], -0.5, v[76:77]
	v_fma_f64 v[76:77], s[8:9], v[74:75], v[26:27]
	v_fmac_f64_e32 v[26:27], s[4:5], v[74:75]
	v_fmac_f64_e32 v[76:77], s[2:3], v[66:67]
	;; [unrolled: 1-line block ×3, first 2 shown]
	v_add_f64 v[66:67], v[28:29], v[52:53]
	v_add_f64 v[66:67], v[66:67], v[56:57]
	v_add_f64 v[78:79], v[54:55], -v[50:51]
	v_add_f64 v[80:81], v[58:59], -v[62:63]
	v_add_f64 v[66:67], v[66:67], v[60:61]
	v_add_f64 v[78:79], v[78:79], v[80:81]
	;; [unrolled: 1-line block ×4, first 2 shown]
	v_fma_f64 v[74:75], -0.5, v[66:67], v[28:29]
	v_add_f64 v[50:51], v[50:51], -v[62:63]
	v_fmac_f64_e32 v[76:77], s[6:7], v[78:79]
	v_fmac_f64_e32 v[26:27], s[6:7], v[78:79]
	v_fma_f64 v[78:79], s[8:9], v[50:51], v[74:75]
	v_add_f64 v[54:55], v[54:55], -v[58:59]
	v_add_f64 v[58:59], v[52:53], -v[56:57]
	;; [unrolled: 1-line block ×3, first 2 shown]
	v_fmac_f64_e32 v[74:75], s[4:5], v[50:51]
	v_fmac_f64_e32 v[78:79], s[14:15], v[54:55]
	v_add_f64 v[58:59], v[58:59], v[62:63]
	v_fmac_f64_e32 v[74:75], s[2:3], v[54:55]
	v_fmac_f64_e32 v[78:79], s[6:7], v[58:59]
	;; [unrolled: 1-line block ×3, first 2 shown]
	v_add_f64 v[58:59], v[52:53], v[64:65]
	v_fmac_f64_e32 v[28:29], -0.5, v[58:59]
	v_fma_f64 v[142:143], s[4:5], v[54:55], v[28:29]
	v_add_f64 v[52:53], v[56:57], -v[52:53]
	v_add_f64 v[56:57], v[60:61], -v[64:65]
	v_fmac_f64_e32 v[28:29], s[8:9], v[54:55]
	v_fmac_f64_e32 v[142:143], s[14:15], v[50:51]
	v_add_f64 v[52:53], v[52:53], v[56:57]
	v_fmac_f64_e32 v[28:29], s[2:3], v[50:51]
	v_fmac_f64_e32 v[142:143], s[6:7], v[52:53]
	;; [unrolled: 1-line block ×3, first 2 shown]
	v_mul_f64 v[154:155], v[76:77], s[8:9]
	v_mul_f64 v[146:147], v[142:143], s[4:5]
	v_fmac_f64_e32 v[154:155], s[6:7], v[142:143]
	v_mul_f64 v[142:143], v[28:29], s[20:21]
	v_fmac_f64_e32 v[146:147], s[6:7], v[76:77]
	v_fmac_f64_e32 v[142:143], s[8:9], v[26:27]
	v_mul_f64 v[76:77], v[74:75], s[18:19]
	v_mul_f64 v[144:145], v[68:69], s[22:23]
	;; [unrolled: 1-line block ×3, first 2 shown]
	v_add_f64 v[60:61], v[132:133], v[80:81]
	v_mul_f64 v[152:153], v[68:69], s[14:15]
	v_add_f64 v[68:69], v[4:5], v[142:143]
	v_fmac_f64_e32 v[76:77], s[14:15], v[72:73]
	v_add_f64 v[72:73], v[132:133], -v[80:81]
	v_add_f64 v[80:81], v[4:5], -v[142:143]
	v_mul_u32_u24_e32 v4, 10, v188
	v_lshlrev_b32_e32 v172, 4, v4
	v_mul_u32_u24_e32 v4, 10, v128
	v_mul_f64 v[148:149], v[26:27], s[20:21]
	v_lshlrev_b32_e32 v173, 4, v4
	v_mul_u32_u24_e32 v4, 10, v192
	v_add_f64 v[58:59], v[0:1], v[70:71]
	v_fmac_f64_e32 v[144:145], s[2:3], v[78:79]
	v_fmac_f64_e32 v[148:149], s[4:5], v[28:29]
	;; [unrolled: 1-line block ×4, first 2 shown]
	v_add_f64 v[70:71], v[0:1], -v[70:71]
	v_add_f64 v[0:1], v[138:139], -v[146:147]
	v_lshlrev_b32_e32 v254, 4, v4
	v_add_f64 v[54:55], v[134:135], v[144:145]
	v_add_f64 v[50:51], v[138:139], v[146:147]
	;; [unrolled: 1-line block ×7, first 2 shown]
	v_add_f64 v[26:27], v[134:135], -v[144:145]
	v_add_f64 v[78:79], v[2:3], -v[148:149]
	;; [unrolled: 1-line block ×6, first 2 shown]
	s_barrier
	ds_write_b128 v172, v[14:17]
	ds_write_b128 v172, v[10:13] offset:16
	ds_write_b128 v172, v[6:9] offset:32
	ds_write_b128 v172, v[22:25] offset:48
	ds_write_b128 v172, v[18:21] offset:64
	ds_write_b128 v172, v[38:41] offset:80
	ds_write_b128 v172, v[34:37] offset:96
	ds_write_b128 v172, v[30:33] offset:112
	ds_write_b128 v172, v[46:49] offset:128
	ds_write_b128 v172, v[42:45] offset:144
	ds_write_b128 v173, v[94:97]
	ds_write_b128 v173, v[90:93] offset:16
	ds_write_b128 v173, v[86:89] offset:32
	ds_write_b128 v173, v[102:105] offset:48
	ds_write_b128 v173, v[98:101] offset:64
	ds_write_b128 v173, v[114:117] offset:80
	ds_write_b128 v173, v[110:113] offset:96
	ds_write_b128 v173, v[106:109] offset:112
	ds_write_b128 v173, v[118:121] offset:128
	ds_write_b128 v173, v[82:85] offset:144
	;; [unrolled: 10-line block ×3, first 2 shown]
	v_mul_lo_u16_e32 v0, 0x67, v188
	v_lshrrev_b16_e32 v195, 10, v0
	v_mul_lo_u16_e32 v0, 10, v195
	v_sub_u16_e32 v0, v188, v0
	v_and_b32_e32 v196, 0xff, v0
	v_pk_mov_b32 v[0:1], s[10:11], s[10:11] op_sel:[0,1]
	v_mad_u64_u32 v[122:123], s[24:25], v196, s26, v[0:1]
	s_waitcnt lgkmcnt(0)
	s_barrier
	ds_read_b128 v[18:21], v171
	ds_read_b128 v[118:121], v171 offset:10240
	ds_read_b128 v[114:117], v171 offset:20480
	;; [unrolled: 1-line block ×29, first 2 shown]
	global_load_dwordx4 v[138:141], v[122:123], off offset:48
	global_load_dwordx4 v[142:145], v[122:123], off offset:32
	;; [unrolled: 1-line block ×3, first 2 shown]
	global_load_dwordx4 v[150:153], v[122:123], off
	s_waitcnt vmcnt(0)
	buffer_store_dword v150, off, s[40:43], 0 offset:668 ; 4-byte Folded Spill
	s_nop 0
	buffer_store_dword v151, off, s[40:43], 0 offset:672 ; 4-byte Folded Spill
	buffer_store_dword v152, off, s[40:43], 0 offset:676 ; 4-byte Folded Spill
	buffer_store_dword v153, off, s[40:43], 0 offset:680 ; 4-byte Folded Spill
	buffer_store_dword v146, off, s[40:43], 0 offset:644 ; 4-byte Folded Spill
	s_nop 0
	buffer_store_dword v147, off, s[40:43], 0 offset:648 ; 4-byte Folded Spill
	buffer_store_dword v148, off, s[40:43], 0 offset:652 ; 4-byte Folded Spill
	buffer_store_dword v149, off, s[40:43], 0 offset:656 ; 4-byte Folded Spill
	;; [unrolled: 5-line block ×4, first 2 shown]
	s_waitcnt lgkmcnt(14)
	v_mul_f64 v[130:131], v[120:121], v[152:153]
	v_fma_f64 v[134:135], v[118:119], v[150:151], -v[130:131]
	v_mul_f64 v[136:137], v[118:119], v[152:153]
	v_mul_f64 v[118:119], v[116:117], v[148:149]
	v_fma_f64 v[158:159], v[114:115], v[146:147], -v[118:119]
	v_mul_f64 v[160:161], v[114:115], v[148:149]
	;; [unrolled: 3-line block ×3, first 2 shown]
	v_mul_f64 v[110:111], v[108:109], v[140:141]
	v_mul_f64 v[164:165], v[106:107], v[140:141]
	v_fma_f64 v[162:163], v[106:107], v[138:139], -v[110:111]
	v_fmac_f64_e32 v[164:165], v[108:109], v[138:139]
	global_load_dwordx4 v[108:111], v[122:123], off offset:64
	s_waitcnt vmcnt(0)
	buffer_store_dword v108, off, s[40:43], 0 offset:700 ; 4-byte Folded Spill
	s_nop 0
	buffer_store_dword v109, off, s[40:43], 0 offset:704 ; 4-byte Folded Spill
	buffer_store_dword v110, off, s[40:43], 0 offset:708 ; 4-byte Folded Spill
	;; [unrolled: 1-line block ×3, first 2 shown]
	v_fmac_f64_e32 v[160:161], v[116:117], v[146:147]
	v_fmac_f64_e32 v[156:157], v[112:113], v[142:143]
	;; [unrolled: 1-line block ×3, first 2 shown]
	v_mul_f64 v[106:107], v[104:105], v[110:111]
	v_fma_f64 v[166:167], v[102:103], v[108:109], -v[106:107]
	v_mul_f64 v[168:169], v[102:103], v[110:111]
	v_mul_lo_u16_e32 v102, 0xcd, v128
	v_lshrrev_b16_e32 v197, 11, v102
	v_mul_lo_u16_e32 v102, 10, v197
	v_sub_u16_e32 v102, v128, v102
	v_and_b32_e32 v198, 0xff, v102
	v_mad_u64_u32 v[0:1], s[24:25], v198, s26, v[0:1]
	v_fmac_f64_e32 v[168:169], v[104:105], v[108:109]
	global_load_dwordx4 v[104:107], v[0:1], off offset:48
	global_load_dwordx4 v[108:111], v[0:1], off offset:32
	;; [unrolled: 1-line block ×3, first 2 shown]
	global_load_dwordx4 v[116:119], v[0:1], off
	s_waitcnt vmcnt(0)
	buffer_store_dword v116, off, s[40:43], 0 offset:1084 ; 4-byte Folded Spill
	s_nop 0
	buffer_store_dword v117, off, s[40:43], 0 offset:1088 ; 4-byte Folded Spill
	buffer_store_dword v118, off, s[40:43], 0 offset:1092 ; 4-byte Folded Spill
	buffer_store_dword v119, off, s[40:43], 0 offset:1096 ; 4-byte Folded Spill
	buffer_store_dword v112, off, s[40:43], 0 offset:1044 ; 4-byte Folded Spill
	s_nop 0
	buffer_store_dword v113, off, s[40:43], 0 offset:1048 ; 4-byte Folded Spill
	buffer_store_dword v114, off, s[40:43], 0 offset:1052 ; 4-byte Folded Spill
	buffer_store_dword v115, off, s[40:43], 0 offset:1056 ; 4-byte Folded Spill
	;; [unrolled: 5-line block ×4, first 2 shown]
	s_mov_b32 s24, 0xe8584caa
	s_mov_b32 s25, 0x3febb67a
	;; [unrolled: 1-line block ×3, first 2 shown]
	v_mul_f64 v[102:103], v[100:101], v[118:119]
	v_fma_f64 v[130:131], v[98:99], v[116:117], -v[102:103]
	v_mul_f64 v[132:133], v[98:99], v[118:119]
	v_mul_f64 v[98:99], v[96:97], v[114:115]
	v_fma_f64 v[146:147], v[94:95], v[112:113], -v[98:99]
	v_mul_f64 v[148:149], v[94:95], v[114:115]
	;; [unrolled: 3-line block ×3, first 2 shown]
	v_mul_f64 v[90:91], v[88:89], v[106:107]
	v_mul_f64 v[152:153], v[86:87], v[106:107]
	v_fma_f64 v[150:151], v[86:87], v[104:105], -v[90:91]
	v_fmac_f64_e32 v[152:153], v[88:89], v[104:105]
	global_load_dwordx4 v[86:89], v[0:1], off offset:64
	s_waitcnt vmcnt(0)
	buffer_store_dword v86, off, s[40:43], 0 offset:876 ; 4-byte Folded Spill
	s_nop 0
	buffer_store_dword v87, off, s[40:43], 0 offset:880 ; 4-byte Folded Spill
	buffer_store_dword v88, off, s[40:43], 0 offset:884 ; 4-byte Folded Spill
	;; [unrolled: 1-line block ×3, first 2 shown]
	v_fmac_f64_e32 v[140:141], v[92:93], v[108:109]
	v_fmac_f64_e32 v[148:149], v[96:97], v[112:113]
	;; [unrolled: 1-line block ×3, first 2 shown]
	v_mul_f64 v[0:1], v[84:85], v[88:89]
	v_fma_f64 v[142:143], v[82:83], v[86:87], -v[0:1]
	v_mul_u32_u24_e32 v0, 0x199a, v192
	v_lshrrev_b32_e32 v199, 16, v0
	v_mul_lo_u16_e32 v0, 10, v199
	v_sub_u16_e32 v202, v192, v0
	v_mul_lo_u16_e32 v0, 0x50, v202
	v_add_co_u32_e32 v0, vcc, s10, v0
	v_mul_f64 v[144:145], v[82:83], v[88:89]
	v_addc_co_u32_e32 v1, vcc, 0, v193, vcc
	v_fmac_f64_e32 v[144:145], v[84:85], v[86:87]
	global_load_dwordx4 v[84:87], v[0:1], off offset:48
	global_load_dwordx4 v[88:91], v[0:1], off offset:32
	;; [unrolled: 1-line block ×3, first 2 shown]
	s_waitcnt vmcnt(0)
	buffer_store_dword v92, off, s[40:43], 0 offset:1012 ; 4-byte Folded Spill
	s_nop 0
	buffer_store_dword v93, off, s[40:43], 0 offset:1016 ; 4-byte Folded Spill
	buffer_store_dword v94, off, s[40:43], 0 offset:1020 ; 4-byte Folded Spill
	;; [unrolled: 1-line block ×3, first 2 shown]
	global_load_dwordx4 v[96:99], v[0:1], off
	s_waitcnt vmcnt(0)
	buffer_store_dword v96, off, s[40:43], 0 offset:1060 ; 4-byte Folded Spill
	s_nop 0
	buffer_store_dword v97, off, s[40:43], 0 offset:1064 ; 4-byte Folded Spill
	buffer_store_dword v98, off, s[40:43], 0 offset:1068 ; 4-byte Folded Spill
	buffer_store_dword v99, off, s[40:43], 0 offset:1072 ; 4-byte Folded Spill
	buffer_store_dword v88, off, s[40:43], 0 offset:944 ; 4-byte Folded Spill
	s_nop 0
	buffer_store_dword v89, off, s[40:43], 0 offset:948 ; 4-byte Folded Spill
	buffer_store_dword v90, off, s[40:43], 0 offset:952 ; 4-byte Folded Spill
	buffer_store_dword v91, off, s[40:43], 0 offset:956 ; 4-byte Folded Spill
	;; [unrolled: 5-line block ×3, first 2 shown]
	v_mul_f64 v[122:123], v[74:75], v[94:95]
	v_fmac_f64_e32 v[122:123], v[76:77], v[92:93]
	v_mul_f64 v[82:83], v[80:81], v[98:99]
	v_fma_f64 v[120:121], v[78:79], v[96:97], -v[82:83]
	v_mul_f64 v[78:79], v[78:79], v[98:99]
	v_fmac_f64_e32 v[78:79], v[80:81], v[96:97]
	v_mul_f64 v[80:81], v[76:77], v[94:95]
	v_fma_f64 v[80:81], v[74:75], v[92:93], -v[80:81]
	v_mul_f64 v[74:75], v[72:73], v[90:91]
	v_fma_f64 v[74:75], v[70:71], v[88:89], -v[74:75]
	v_mul_f64 v[70:71], v[70:71], v[90:91]
	v_fmac_f64_e32 v[70:71], v[72:73], v[88:89]
	s_waitcnt lgkmcnt(13)
	v_mul_f64 v[72:73], v[68:69], v[86:87]
	v_mul_f64 v[76:77], v[66:67], v[86:87]
	v_fma_f64 v[72:73], v[66:67], v[84:85], -v[72:73]
	v_fmac_f64_e32 v[76:77], v[68:69], v[84:85]
	global_load_dwordx4 v[82:85], v[0:1], off offset:64
	s_waitcnt vmcnt(0)
	buffer_store_dword v82, off, s[40:43], 0 offset:812 ; 4-byte Folded Spill
	s_nop 0
	buffer_store_dword v83, off, s[40:43], 0 offset:816 ; 4-byte Folded Spill
	buffer_store_dword v84, off, s[40:43], 0 offset:820 ; 4-byte Folded Spill
	buffer_store_dword v85, off, s[40:43], 0 offset:824 ; 4-byte Folded Spill
	s_waitcnt lgkmcnt(12)
	v_mul_f64 v[0:1], v[64:65], v[84:85]
	v_fma_f64 v[66:67], v[62:63], v[82:83], -v[0:1]
	v_mul_u32_u24_e32 v0, 0x199a, v126
	v_lshrrev_b32_e32 v200, 16, v0
	v_mul_lo_u16_e32 v0, 10, v200
	v_sub_u16_e32 v203, v126, v0
	v_mul_lo_u16_e32 v0, 0x50, v203
	v_add_co_u32_e32 v0, vcc, s10, v0
	v_mul_f64 v[62:63], v[62:63], v[84:85]
	v_addc_co_u32_e32 v1, vcc, 0, v193, vcc
	v_fmac_f64_e32 v[62:63], v[64:65], v[82:83]
	global_load_dwordx4 v[86:89], v[0:1], off offset:48
	global_load_dwordx4 v[82:85], v[0:1], off offset:32
	;; [unrolled: 1-line block ×3, first 2 shown]
	global_load_dwordx4 v[100:103], v[0:1], off
	s_waitcnt vmcnt(0)
	buffer_store_dword v100, off, s[40:43], 0 offset:1028 ; 4-byte Folded Spill
	s_nop 0
	buffer_store_dword v101, off, s[40:43], 0 offset:1032 ; 4-byte Folded Spill
	buffer_store_dword v102, off, s[40:43], 0 offset:1036 ; 4-byte Folded Spill
	;; [unrolled: 1-line block ×3, first 2 shown]
	s_waitcnt lgkmcnt(10)
	v_mul_f64 v[64:65], v[60:61], v[102:103]
	v_mul_f64 v[94:95], v[58:59], v[102:103]
	v_fma_f64 v[92:93], v[58:59], v[100:101], -v[64:65]
	v_fmac_f64_e32 v[94:95], v[60:61], v[100:101]
	v_pk_mov_b32 v[100:101], v[98:99], v[98:99] op_sel:[0,1]
	v_pk_mov_b32 v[98:99], v[96:97], v[96:97] op_sel:[0,1]
	buffer_store_dword v98, off, s[40:43], 0 offset:964 ; 4-byte Folded Spill
	s_nop 0
	buffer_store_dword v99, off, s[40:43], 0 offset:968 ; 4-byte Folded Spill
	buffer_store_dword v100, off, s[40:43], 0 offset:972 ; 4-byte Folded Spill
	;; [unrolled: 1-line block ×3, first 2 shown]
	s_waitcnt lgkmcnt(9)
	v_mul_f64 v[58:59], v[56:57], v[100:101]
	v_mul_f64 v[96:97], v[54:55], v[100:101]
	v_fma_f64 v[90:91], v[54:55], v[98:99], -v[58:59]
	v_fmac_f64_e32 v[96:97], v[56:57], v[98:99]
	v_pk_mov_b32 v[56:57], v[82:83], v[82:83] op_sel:[0,1]
	v_pk_mov_b32 v[58:59], v[84:85], v[84:85] op_sel:[0,1]
	buffer_store_dword v56, off, s[40:43], 0 offset:828 ; 4-byte Folded Spill
	s_nop 0
	buffer_store_dword v57, off, s[40:43], 0 offset:832 ; 4-byte Folded Spill
	buffer_store_dword v58, off, s[40:43], 0 offset:836 ; 4-byte Folded Spill
	;; [unrolled: 1-line block ×4, first 2 shown]
	s_nop 0
	buffer_store_dword v87, off, s[40:43], 0 offset:780 ; 4-byte Folded Spill
	buffer_store_dword v88, off, s[40:43], 0 offset:784 ; 4-byte Folded Spill
	;; [unrolled: 1-line block ×3, first 2 shown]
	s_waitcnt lgkmcnt(8)
	v_mul_f64 v[54:55], v[52:53], v[58:59]
	v_fma_f64 v[82:83], v[50:51], v[56:57], -v[54:55]
	v_mul_f64 v[84:85], v[50:51], v[58:59]
	s_waitcnt lgkmcnt(7)
	v_mul_f64 v[50:51], v[48:49], v[88:89]
	v_mul_f64 v[100:101], v[46:47], v[88:89]
	v_fma_f64 v[98:99], v[46:47], v[86:87], -v[50:51]
	v_fmac_f64_e32 v[100:101], v[48:49], v[86:87]
	global_load_dwordx4 v[46:49], v[0:1], off offset:64
	s_waitcnt vmcnt(0)
	buffer_store_dword v46, off, s[40:43], 0 offset:724 ; 4-byte Folded Spill
	s_nop 0
	buffer_store_dword v47, off, s[40:43], 0 offset:728 ; 4-byte Folded Spill
	buffer_store_dword v48, off, s[40:43], 0 offset:732 ; 4-byte Folded Spill
	;; [unrolled: 1-line block ×3, first 2 shown]
	v_fmac_f64_e32 v[84:85], v[52:53], v[56:57]
	s_waitcnt lgkmcnt(6)
	v_mul_f64 v[0:1], v[44:45], v[48:49]
	v_fma_f64 v[86:87], v[42:43], v[46:47], -v[0:1]
	v_mul_u32_u24_e32 v0, 0x199a, v190
	v_lshrrev_b32_e32 v201, 16, v0
	v_mul_lo_u16_e32 v0, 10, v201
	v_sub_u16_e32 v204, v190, v0
	v_mul_lo_u16_e32 v0, 0x50, v204
	v_mul_f64 v[88:89], v[42:43], v[48:49]
	v_add_co_u32_e32 v42, vcc, s10, v0
	v_addc_co_u32_e32 v43, vcc, 0, v193, vcc
	v_fmac_f64_e32 v[88:89], v[44:45], v[46:47]
	global_load_dwordx4 v[44:47], v[42:43], off offset:48
	global_load_dwordx4 v[48:51], v[42:43], off offset:32
	;; [unrolled: 1-line block ×3, first 2 shown]
	global_load_dwordx4 v[56:59], v[42:43], off
	s_waitcnt vmcnt(0)
	buffer_store_dword v56, off, s[40:43], 0 offset:980 ; 4-byte Folded Spill
	s_nop 0
	buffer_store_dword v57, off, s[40:43], 0 offset:984 ; 4-byte Folded Spill
	buffer_store_dword v58, off, s[40:43], 0 offset:988 ; 4-byte Folded Spill
	buffer_store_dword v59, off, s[40:43], 0 offset:992 ; 4-byte Folded Spill
	buffer_store_dword v52, off, s[40:43], 0 offset:892 ; 4-byte Folded Spill
	s_nop 0
	buffer_store_dword v53, off, s[40:43], 0 offset:896 ; 4-byte Folded Spill
	buffer_store_dword v54, off, s[40:43], 0 offset:900 ; 4-byte Folded Spill
	buffer_store_dword v55, off, s[40:43], 0 offset:904 ; 4-byte Folded Spill
	;; [unrolled: 5-line block ×4, first 2 shown]
	s_waitcnt lgkmcnt(4)
	v_mul_f64 v[0:1], v[40:41], v[58:59]
	v_fma_f64 v[0:1], v[38:39], v[56:57], -v[0:1]
	v_mul_f64 v[112:113], v[38:39], v[58:59]
	s_waitcnt lgkmcnt(3)
	v_mul_f64 v[38:39], v[36:37], v[54:55]
	v_fma_f64 v[110:111], v[34:35], v[52:53], -v[38:39]
	v_mul_f64 v[114:115], v[34:35], v[54:55]
	;; [unrolled: 4-line block ×3, first 2 shown]
	s_waitcnt lgkmcnt(1)
	v_mul_f64 v[30:31], v[28:29], v[46:47]
	v_mul_f64 v[118:119], v[26:27], v[46:47]
	v_fma_f64 v[116:117], v[26:27], v[44:45], -v[30:31]
	v_fmac_f64_e32 v[118:119], v[28:29], v[44:45]
	global_load_dwordx4 v[28:31], v[42:43], off offset:64
	s_waitcnt vmcnt(0)
	buffer_store_dword v28, off, s[40:43], 0 offset:752 ; 4-byte Folded Spill
	s_nop 0
	buffer_store_dword v29, off, s[40:43], 0 offset:756 ; 4-byte Folded Spill
	buffer_store_dword v30, off, s[40:43], 0 offset:760 ; 4-byte Folded Spill
	;; [unrolled: 1-line block ×3, first 2 shown]
	v_fmac_f64_e32 v[114:115], v[36:37], v[52:53]
	v_fmac_f64_e32 v[112:113], v[40:41], v[56:57]
	;; [unrolled: 1-line block ×3, first 2 shown]
	s_waitcnt lgkmcnt(0)
	s_barrier
	v_mul_f64 v[26:27], v[24:25], v[30:31]
	v_fma_f64 v[106:107], v[22:23], v[28:29], -v[26:27]
	v_mul_f64 v[108:109], v[22:23], v[30:31]
	v_add_f64 v[22:23], v[18:19], v[158:159]
	v_add_f64 v[34:35], v[22:23], v[162:163]
	;; [unrolled: 1-line block ×3, first 2 shown]
	v_fmac_f64_e32 v[18:19], -0.5, v[22:23]
	v_add_f64 v[22:23], v[160:161], -v[164:165]
	v_fma_f64 v[36:37], s[24:25], v[22:23], v[18:19]
	v_fmac_f64_e32 v[18:19], s[26:27], v[22:23]
	v_add_f64 v[22:23], v[20:21], v[160:161]
	v_add_f64 v[40:41], v[22:23], v[164:165]
	;; [unrolled: 1-line block ×3, first 2 shown]
	v_fmac_f64_e32 v[20:21], -0.5, v[22:23]
	v_add_f64 v[22:23], v[158:159], -v[162:163]
	v_fma_f64 v[42:43], s[26:27], v[22:23], v[20:21]
	v_fmac_f64_e32 v[20:21], s[24:25], v[22:23]
	v_add_f64 v[22:23], v[134:135], v[154:155]
	v_add_f64 v[38:39], v[22:23], v[166:167]
	;; [unrolled: 1-line block ×3, first 2 shown]
	v_fmac_f64_e32 v[134:135], -0.5, v[22:23]
	v_add_f64 v[22:23], v[156:157], -v[168:169]
	v_fmac_f64_e32 v[108:109], v[24:25], v[28:29]
	v_fma_f64 v[24:25], s[24:25], v[22:23], v[134:135]
	v_fmac_f64_e32 v[134:135], s[26:27], v[22:23]
	v_add_f64 v[22:23], v[136:137], v[156:157]
	v_add_f64 v[44:45], v[22:23], v[168:169]
	;; [unrolled: 1-line block ×3, first 2 shown]
	v_fmac_f64_e32 v[136:137], -0.5, v[22:23]
	v_add_f64 v[22:23], v[154:155], -v[166:167]
	v_fma_f64 v[32:33], s[26:27], v[22:23], v[136:137]
	v_mul_f64 v[46:47], v[32:33], s[24:25]
	v_mul_f64 v[50:51], v[24:25], s[26:27]
	v_fmac_f64_e32 v[46:47], 0.5, v[24:25]
	v_fmac_f64_e32 v[50:51], 0.5, v[32:33]
	v_fmac_f64_e32 v[136:137], s[24:25], v[22:23]
	v_add_f64 v[26:27], v[34:35], v[38:39]
	v_add_f64 v[22:23], v[36:37], v[46:47]
	v_add_f64 v[24:25], v[42:43], v[50:51]
	v_add_f64 v[38:39], v[34:35], -v[38:39]
	v_add_f64 v[34:35], v[36:37], -v[46:47]
	;; [unrolled: 1-line block ×3, first 2 shown]
	v_add_f64 v[42:43], v[14:15], v[146:147]
	v_add_f64 v[54:55], v[42:43], v[150:151]
	;; [unrolled: 1-line block ×3, first 2 shown]
	v_fmac_f64_e32 v[14:15], -0.5, v[42:43]
	v_add_f64 v[42:43], v[148:149], -v[152:153]
	v_fma_f64 v[56:57], s[24:25], v[42:43], v[14:15]
	v_fmac_f64_e32 v[14:15], s[26:27], v[42:43]
	v_add_f64 v[42:43], v[16:17], v[148:149]
	v_add_f64 v[60:61], v[42:43], v[152:153]
	;; [unrolled: 1-line block ×3, first 2 shown]
	v_fmac_f64_e32 v[16:17], -0.5, v[42:43]
	v_add_f64 v[42:43], v[146:147], -v[150:151]
	v_fma_f64 v[64:65], s[26:27], v[42:43], v[16:17]
	v_fmac_f64_e32 v[16:17], s[24:25], v[42:43]
	v_add_f64 v[42:43], v[130:131], v[138:139]
	v_add_f64 v[58:59], v[42:43], v[142:143]
	;; [unrolled: 1-line block ×3, first 2 shown]
	v_fmac_f64_e32 v[130:131], -0.5, v[42:43]
	v_add_f64 v[42:43], v[140:141], -v[144:145]
	v_add_f64 v[28:29], v[40:41], v[44:45]
	v_add_f64 v[40:41], v[40:41], -v[44:45]
	v_fma_f64 v[44:45], s[24:25], v[42:43], v[130:131]
	v_fmac_f64_e32 v[130:131], s[26:27], v[42:43]
	v_add_f64 v[42:43], v[132:133], v[140:141]
	v_mul_f64 v[52:53], v[136:137], -0.5
	v_add_f64 v[68:69], v[42:43], v[144:145]
	v_add_f64 v[42:43], v[140:141], v[144:145]
	v_fmac_f64_e32 v[52:53], s[26:27], v[134:135]
	v_fmac_f64_e32 v[132:133], -0.5, v[42:43]
	v_add_f64 v[42:43], v[138:139], -v[142:143]
	v_add_f64 v[32:33], v[20:21], v[52:53]
	v_add_f64 v[20:21], v[20:21], -v[52:53]
	v_fma_f64 v[52:53], s[26:27], v[42:43], v[132:133]
	v_mul_f64 v[48:49], v[134:135], -0.5
	v_mul_f64 v[134:135], v[52:53], s[24:25]
	v_mul_f64 v[138:139], v[44:45], s[26:27]
	v_fmac_f64_e32 v[48:49], s[24:25], v[136:137]
	v_fmac_f64_e32 v[132:133], s[24:25], v[42:43]
	v_fmac_f64_e32 v[134:135], 0.5, v[44:45]
	v_mul_f64 v[136:137], v[130:131], -0.5
	v_fmac_f64_e32 v[138:139], 0.5, v[52:53]
	v_add_f64 v[46:47], v[54:55], v[58:59]
	v_add_f64 v[42:43], v[56:57], v[134:135]
	v_fmac_f64_e32 v[136:137], s[24:25], v[132:133]
	v_add_f64 v[44:45], v[64:65], v[138:139]
	v_mul_f64 v[132:133], v[132:133], -0.5
	v_add_f64 v[58:59], v[54:55], -v[58:59]
	v_add_f64 v[54:55], v[56:57], -v[134:135]
	;; [unrolled: 1-line block ×3, first 2 shown]
	v_add_f64 v[64:65], v[10:11], v[80:81]
	v_fmac_f64_e32 v[132:133], s[26:27], v[130:131]
	v_add_f64 v[130:131], v[64:65], v[72:73]
	v_add_f64 v[64:65], v[80:81], v[72:73]
	v_fmac_f64_e32 v[10:11], -0.5, v[64:65]
	v_add_f64 v[64:65], v[122:123], -v[76:77]
	v_add_f64 v[52:53], v[16:17], v[132:133]
	v_add_f64 v[16:17], v[16:17], -v[132:133]
	v_fma_f64 v[132:133], s[24:25], v[64:65], v[10:11]
	v_fmac_f64_e32 v[10:11], s[26:27], v[64:65]
	v_add_f64 v[64:65], v[12:13], v[122:123]
	v_add_f64 v[134:135], v[64:65], v[76:77]
	v_add_f64 v[64:65], v[122:123], v[76:77]
	v_fmac_f64_e32 v[12:13], -0.5, v[64:65]
	v_add_f64 v[64:65], v[80:81], -v[72:73]
	v_fma_f64 v[76:77], s[26:27], v[64:65], v[12:13]
	v_fmac_f64_e32 v[12:13], s[24:25], v[64:65]
	v_add_f64 v[64:65], v[120:121], v[74:75]
	v_add_f64 v[80:81], v[64:65], v[66:67]
	v_add_f64 v[64:65], v[74:75], v[66:67]
	v_fmac_f64_e32 v[120:121], -0.5, v[64:65]
	;; [unrolled: 7-line block ×3, first 2 shown]
	v_add_f64 v[62:63], v[74:75], -v[66:67]
	v_add_f64 v[50:51], v[14:15], v[136:137]
	v_add_f64 v[14:15], v[14:15], -v[136:137]
	v_fma_f64 v[64:65], s[26:27], v[62:63], v[78:79]
	v_fmac_f64_e32 v[78:79], s[24:25], v[62:63]
	v_mul_f64 v[136:137], v[120:121], -0.5
	v_add_f64 v[30:31], v[18:19], v[48:49]
	v_add_f64 v[18:19], v[18:19], -v[48:49]
	v_add_f64 v[48:49], v[60:61], v[68:69]
	v_add_f64 v[60:61], v[60:61], -v[68:69]
	v_add_f64 v[66:67], v[130:131], v[80:81]
	v_fmac_f64_e32 v[136:137], s[24:25], v[78:79]
	v_add_f64 v[68:69], v[134:135], v[122:123]
	v_mul_f64 v[140:141], v[78:79], -0.5
	v_add_f64 v[78:79], v[130:131], -v[80:81]
	v_add_f64 v[80:81], v[134:135], -v[122:123]
	v_add_f64 v[122:123], v[90:91], v[98:99]
	v_fmac_f64_e32 v[140:141], s[26:27], v[120:121]
	v_add_f64 v[120:121], v[6:7], v[90:91]
	v_fmac_f64_e32 v[6:7], -0.5, v[122:123]
	v_add_f64 v[122:123], v[96:97], -v[100:101]
	v_fma_f64 v[130:131], s[24:25], v[122:123], v[6:7]
	v_fmac_f64_e32 v[6:7], s[26:27], v[122:123]
	v_add_f64 v[122:123], v[8:9], v[96:97]
	v_add_f64 v[96:97], v[96:97], v[100:101]
	v_fmac_f64_e32 v[8:9], -0.5, v[96:97]
	v_add_f64 v[90:91], v[90:91], -v[98:99]
	v_fma_f64 v[96:97], s[26:27], v[90:91], v[8:9]
	v_fmac_f64_e32 v[8:9], s[24:25], v[90:91]
	v_add_f64 v[90:91], v[92:93], v[82:83]
	v_add_f64 v[120:121], v[120:121], v[98:99]
	;; [unrolled: 1-line block ×4, first 2 shown]
	v_fmac_f64_e32 v[92:93], -0.5, v[90:91]
	v_add_f64 v[90:91], v[84:85], -v[88:89]
	v_add_f64 v[122:123], v[122:123], v[100:101]
	v_fma_f64 v[100:101], s[24:25], v[90:91], v[92:93]
	v_fmac_f64_e32 v[92:93], s[26:27], v[90:91]
	v_add_f64 v[90:91], v[94:95], v[84:85]
	v_add_f64 v[84:85], v[84:85], v[88:89]
	v_mul_f64 v[74:75], v[64:65], s[24:25]
	v_fmac_f64_e32 v[94:95], -0.5, v[84:85]
	v_add_f64 v[82:83], v[82:83], -v[86:87]
	v_fmac_f64_e32 v[74:75], 0.5, v[72:73]
	v_mul_f64 v[138:139], v[72:73], s[26:27]
	v_fma_f64 v[84:85], s[26:27], v[82:83], v[94:95]
	v_add_f64 v[62:63], v[132:133], v[74:75]
	v_fmac_f64_e32 v[138:139], 0.5, v[64:65]
	v_add_f64 v[74:75], v[132:133], -v[74:75]
	v_add_f64 v[132:133], v[90:91], v[88:89]
	v_mul_f64 v[134:135], v[84:85], s[24:25]
	v_add_f64 v[64:65], v[76:77], v[138:139]
	v_add_f64 v[76:77], v[76:77], -v[138:139]
	v_fmac_f64_e32 v[134:135], 0.5, v[100:101]
	v_add_f64 v[88:89], v[122:123], v[132:133]
	v_mul_f64 v[138:139], v[100:101], s[26:27]
	v_add_f64 v[100:101], v[122:123], -v[132:133]
	v_add_f64 v[122:123], v[110:111], v[116:117]
	v_add_f64 v[70:71], v[10:11], v[136:137]
	v_add_f64 v[10:11], v[10:11], -v[136:137]
	v_fmac_f64_e32 v[94:95], s[24:25], v[82:83]
	v_add_f64 v[86:87], v[120:121], v[98:99]
	v_mul_f64 v[136:137], v[92:93], -0.5
	v_add_f64 v[98:99], v[120:121], -v[98:99]
	v_add_f64 v[120:121], v[2:3], v[110:111]
	v_fmac_f64_e32 v[2:3], -0.5, v[122:123]
	v_add_f64 v[122:123], v[114:115], -v[118:119]
	v_add_f64 v[72:73], v[12:13], v[140:141]
	v_add_f64 v[12:13], v[12:13], -v[140:141]
	v_add_f64 v[82:83], v[130:131], v[134:135]
	v_fmac_f64_e32 v[136:137], s[24:25], v[94:95]
	v_mul_f64 v[140:141], v[94:95], -0.5
	v_add_f64 v[94:95], v[130:131], -v[134:135]
	v_fma_f64 v[130:131], s[24:25], v[122:123], v[2:3]
	v_fmac_f64_e32 v[2:3], s[26:27], v[122:123]
	v_add_f64 v[122:123], v[4:5], v[114:115]
	v_add_f64 v[114:115], v[114:115], v[118:119]
	v_fmac_f64_e32 v[4:5], -0.5, v[114:115]
	v_add_f64 v[110:111], v[110:111], -v[116:117]
	v_fma_f64 v[132:133], s[26:27], v[110:111], v[4:5]
	v_fmac_f64_e32 v[4:5], s[24:25], v[110:111]
	v_add_f64 v[110:111], v[0:1], v[102:103]
	v_add_f64 v[114:115], v[110:111], v[106:107]
	;; [unrolled: 1-line block ×3, first 2 shown]
	v_fmac_f64_e32 v[0:1], -0.5, v[110:111]
	v_add_f64 v[110:111], v[104:105], -v[108:109]
	v_add_f64 v[120:121], v[120:121], v[116:117]
	v_fma_f64 v[116:117], s[24:25], v[110:111], v[0:1]
	v_fmac_f64_e32 v[0:1], s[26:27], v[110:111]
	v_add_f64 v[110:111], v[112:113], v[104:105]
	v_add_f64 v[104:105], v[104:105], v[108:109]
	v_fmac_f64_e32 v[112:113], -0.5, v[104:105]
	v_add_f64 v[102:103], v[102:103], -v[106:107]
	v_fmac_f64_e32 v[140:141], s[26:27], v[92:93]
	v_fma_f64 v[104:105], s[26:27], v[102:103], v[112:113]
	v_fmac_f64_e32 v[112:113], s[24:25], v[102:103]
	v_add_f64 v[92:93], v[8:9], v[140:141]
	v_add_f64 v[8:9], v[8:9], -v[140:141]
	v_mul_f64 v[140:141], v[112:113], -0.5
	v_add_f64 v[90:91], v[6:7], v[136:137]
	v_add_f64 v[6:7], v[6:7], -v[136:137]
	v_mul_f64 v[136:137], v[0:1], -0.5
	v_fmac_f64_e32 v[140:141], s[26:27], v[0:1]
	v_add_f64 v[106:107], v[120:121], v[114:115]
	v_fmac_f64_e32 v[136:137], s[24:25], v[112:113]
	v_add_f64 v[112:113], v[4:5], v[140:141]
	v_add_f64 v[114:115], v[120:121], -v[114:115]
	v_add_f64 v[120:121], v[4:5], -v[140:141]
	v_mul_u32_u24_e32 v4, 60, v195
	v_add_lshl_u32 v255, v4, v196, 4
	v_mul_u32_u24_e32 v4, 60, v197
	v_add_lshl_u32 v4, v4, v198, 4
	ds_write_b128 v255, v[26:29]
	ds_write_b128 v255, v[22:25] offset:160
	ds_write_b128 v255, v[30:33] offset:320
	;; [unrolled: 1-line block ×5, first 2 shown]
	buffer_store_dword v4, off, s[40:43], 0 offset:284 ; 4-byte Folded Spill
	ds_write_b128 v4, v[46:49]
	ds_write_b128 v4, v[42:45] offset:160
	ds_write_b128 v4, v[50:53] offset:320
	;; [unrolled: 1-line block ×5, first 2 shown]
	v_mad_legacy_u16 v4, v199, 60, v202
	v_lshlrev_b32_e32 v4, 4, v4
	buffer_store_dword v4, off, s[40:43], 0 offset:168 ; 4-byte Folded Spill
	ds_write_b128 v4, v[66:69]
	ds_write_b128 v4, v[62:65] offset:160
	ds_write_b128 v4, v[70:73] offset:320
	;; [unrolled: 1-line block ×5, first 2 shown]
	v_mad_legacy_u16 v4, v200, 60, v203
	v_fmac_f64_e32 v[138:139], 0.5, v[84:85]
	v_lshlrev_b32_e32 v4, 4, v4
	v_add_f64 v[84:85], v[96:97], v[138:139]
	v_add_f64 v[96:97], v[96:97], -v[138:139]
	v_add_f64 v[122:123], v[122:123], v[118:119]
	v_add_f64 v[134:135], v[110:111], v[108:109]
	v_mul_f64 v[118:119], v[104:105], s[24:25]
	v_mul_f64 v[138:139], v[116:117], s[26:27]
	buffer_store_dword v4, off, s[40:43], 0 offset:148 ; 4-byte Folded Spill
	ds_write_b128 v4, v[86:89]
	ds_write_b128 v4, v[82:85] offset:160
	ds_write_b128 v4, v[90:93] offset:320
	;; [unrolled: 1-line block ×5, first 2 shown]
	v_mad_legacy_u16 v4, v201, 60, v204
	v_fmac_f64_e32 v[118:119], 0.5, v[116:117]
	v_add_f64 v[108:109], v[122:123], v[134:135]
	v_fmac_f64_e32 v[138:139], 0.5, v[104:105]
	v_lshlrev_b32_e32 v4, 4, v4
	v_add_f64 v[102:103], v[130:131], v[118:119]
	v_add_f64 v[110:111], v[2:3], v[136:137]
	;; [unrolled: 1-line block ×3, first 2 shown]
	v_add_f64 v[0:1], v[130:131], -v[118:119]
	v_add_f64 v[118:119], v[2:3], -v[136:137]
	;; [unrolled: 1-line block ×4, first 2 shown]
	buffer_store_dword v4, off, s[40:43], 0 offset:144 ; 4-byte Folded Spill
	ds_write_b128 v4, v[106:109]
	ds_write_b128 v4, v[102:105] offset:160
	ds_write_b128 v4, v[110:113] offset:320
	;; [unrolled: 1-line block ×5, first 2 shown]
	v_mul_lo_u16_e32 v120, 0x89, v188
	v_lshrrev_b16_e32 v131, 13, v120
	v_mul_lo_u16_e32 v120, 60, v131
	v_sub_u16_e32 v120, v188, v120
	v_and_b32_e32 v132, 0xff, v120
	v_lshlrev_b32_e32 v120, 4, v132
	s_waitcnt lgkmcnt(0)
	s_barrier
	ds_read_b128 v[56:59], v171
	ds_read_b128 v[116:119], v171 offset:30720
	ds_read_b128 v[52:55], v171 offset:2048
	;; [unrolled: 1-line block ×29, first 2 shown]
	global_load_dwordx4 v[134:137], v120, s[10:11] offset:800
	s_waitcnt vmcnt(0)
	buffer_store_dword v134, off, s[40:43], 0 offset:1128 ; 4-byte Folded Spill
	s_nop 0
	buffer_store_dword v135, off, s[40:43], 0 offset:1132 ; 4-byte Folded Spill
	buffer_store_dword v136, off, s[40:43], 0 offset:1136 ; 4-byte Folded Spill
	;; [unrolled: 1-line block ×3, first 2 shown]
	v_mul_lo_u16_e32 v130, 0x89, v128
	v_lshrrev_b16_e32 v133, 13, v130
	v_mul_u32_u24_e32 v142, 0x445, v190
	v_lshrrev_b32_e32 v150, 16, v142
	v_mul_u32_u24_e32 v143, 0x445, v191
	v_lshrrev_b32_e32 v152, 16, v143
	;; [unrolled: 2-line block ×7, first 2 shown]
	s_waitcnt lgkmcnt(14)
	v_mul_f64 v[120:121], v[118:119], v[136:137]
	v_fma_f64 v[120:121], v[116:117], v[134:135], -v[120:121]
	v_mul_f64 v[116:117], v[116:117], v[136:137]
	v_fmac_f64_e32 v[116:117], v[118:119], v[134:135]
	v_mul_lo_u16_e32 v118, 60, v133
	v_sub_u16_e32 v118, v128, v118
	v_and_b32_e32 v145, 0xff, v118
	v_lshlrev_b32_e32 v118, 4, v145
	global_load_dwordx4 v[134:137], v118, s[10:11] offset:800
	s_waitcnt vmcnt(0)
	v_mul_f64 v[118:119], v[114:115], v[136:137]
	v_fma_f64 v[122:123], v[112:113], v[134:135], -v[118:119]
	buffer_store_dword v134, off, s[40:43], 0 offset:1148 ; 4-byte Folded Spill
	s_nop 0
	buffer_store_dword v135, off, s[40:43], 0 offset:1152 ; 4-byte Folded Spill
	buffer_store_dword v136, off, s[40:43], 0 offset:1156 ; 4-byte Folded Spill
	;; [unrolled: 1-line block ×3, first 2 shown]
	v_mul_f64 v[118:119], v[112:113], v[136:137]
	v_mul_u32_u24_e32 v112, 0x445, v192
	v_lshrrev_b32_e32 v146, 16, v112
	v_mul_lo_u16_e32 v112, 60, v146
	v_sub_u16_e32 v147, v192, v112
	v_lshlrev_b32_e32 v112, 4, v147
	v_fmac_f64_e32 v[118:119], v[114:115], v[134:135]
	global_load_dwordx4 v[134:137], v112, s[10:11] offset:800
	s_waitcnt vmcnt(0)
	buffer_store_dword v134, off, s[40:43], 0 offset:1168 ; 4-byte Folded Spill
	s_nop 0
	buffer_store_dword v135, off, s[40:43], 0 offset:1172 ; 4-byte Folded Spill
	buffer_store_dword v136, off, s[40:43], 0 offset:1176 ; 4-byte Folded Spill
	;; [unrolled: 1-line block ×3, first 2 shown]
	v_mul_f64 v[112:113], v[110:111], v[136:137]
	v_fma_f64 v[112:113], v[108:109], v[134:135], -v[112:113]
	v_mul_f64 v[108:109], v[108:109], v[136:137]
	v_fmac_f64_e32 v[108:109], v[110:111], v[134:135]
	v_mul_u32_u24_e32 v110, 0x445, v126
	v_lshrrev_b32_e32 v148, 16, v110
	v_mul_lo_u16_e32 v110, 60, v148
	v_sub_u16_e32 v149, v126, v110
	v_lshlrev_b32_e32 v110, 4, v149
	global_load_dwordx4 v[134:137], v110, s[10:11] offset:800
	s_waitcnt vmcnt(0)
	buffer_store_dword v134, off, s[40:43], 0 offset:1188 ; 4-byte Folded Spill
	s_nop 0
	buffer_store_dword v135, off, s[40:43], 0 offset:1192 ; 4-byte Folded Spill
	buffer_store_dword v136, off, s[40:43], 0 offset:1196 ; 4-byte Folded Spill
	;; [unrolled: 1-line block ×3, first 2 shown]
	v_mul_f64 v[110:111], v[106:107], v[136:137]
	v_fma_f64 v[114:115], v[104:105], v[134:135], -v[110:111]
	v_mul_f64 v[110:111], v[104:105], v[136:137]
	v_mul_lo_u16_e32 v104, 60, v150
	v_sub_u16_e32 v151, v190, v104
	v_lshlrev_b32_e32 v104, 4, v151
	v_fmac_f64_e32 v[110:111], v[106:107], v[134:135]
	global_load_dwordx4 v[134:137], v104, s[10:11] offset:800
	s_waitcnt vmcnt(0)
	v_mul_f64 v[104:105], v[102:103], v[136:137]
	v_fma_f64 v[104:105], v[100:101], v[134:135], -v[104:105]
	v_mul_f64 v[100:101], v[100:101], v[136:137]
	v_fmac_f64_e32 v[100:101], v[102:103], v[134:135]
	v_mul_lo_u16_e32 v102, 60, v152
	v_sub_u16_e32 v153, v191, v102
	v_accvgpr_write_b32 a253, v137
	v_lshlrev_b32_e32 v102, 4, v153
	v_accvgpr_write_b32 a252, v136
	v_accvgpr_write_b32 a251, v135
	;; [unrolled: 1-line block ×3, first 2 shown]
	global_load_dwordx4 v[134:137], v102, s[10:11] offset:800
	s_waitcnt vmcnt(0)
	v_mul_f64 v[102:103], v[98:99], v[136:137]
	v_fma_f64 v[106:107], v[96:97], v[134:135], -v[102:103]
	v_mul_f64 v[102:103], v[96:97], v[136:137]
	v_mul_lo_u16_e32 v96, 60, v154
	v_sub_u16_e32 v155, v181, v96
	v_accvgpr_write_b32 a249, v137
	v_lshlrev_b32_e32 v96, 4, v155
	v_fmac_f64_e32 v[102:103], v[98:99], v[134:135]
	v_accvgpr_write_b32 a248, v136
	v_accvgpr_write_b32 a247, v135
	;; [unrolled: 1-line block ×3, first 2 shown]
	global_load_dwordx4 v[134:137], v96, s[10:11] offset:800
	v_add_f64 v[102:103], v[38:39], -v[102:103]
	v_fma_f64 v[38:39], v[38:39], 2.0, -v[102:103]
	s_waitcnt vmcnt(0)
	v_mul_f64 v[96:97], v[94:95], v[136:137]
	v_fma_f64 v[96:97], v[92:93], v[134:135], -v[96:97]
	v_mul_f64 v[92:93], v[92:93], v[136:137]
	v_fmac_f64_e32 v[92:93], v[94:95], v[134:135]
	v_mul_lo_u16_e32 v94, 60, v156
	v_sub_u16_e32 v157, v124, v94
	v_accvgpr_write_b32 a245, v137
	v_lshlrev_b32_e32 v94, 4, v157
	v_accvgpr_write_b32 a244, v136
	v_accvgpr_write_b32 a243, v135
	;; [unrolled: 1-line block ×3, first 2 shown]
	global_load_dwordx4 v[134:137], v94, s[10:11] offset:800
	s_waitcnt vmcnt(0)
	v_mul_f64 v[94:95], v[90:91], v[136:137]
	v_fma_f64 v[98:99], v[88:89], v[134:135], -v[94:95]
	v_mul_f64 v[94:95], v[88:89], v[136:137]
	v_mul_lo_u16_e32 v88, 60, v194
	v_sub_u16_e32 v195, v180, v88
	v_accvgpr_write_b32 a233, v137
	v_lshlrev_b32_e32 v88, 4, v195
	v_fmac_f64_e32 v[94:95], v[90:91], v[134:135]
	v_accvgpr_write_b32 a232, v136
	v_accvgpr_write_b32 a231, v135
	;; [unrolled: 1-line block ×3, first 2 shown]
	global_load_dwordx4 v[134:137], v88, s[10:11] offset:800
	v_add_f64 v[94:95], v[30:31], -v[94:95]
	v_fma_f64 v[30:31], v[30:31], 2.0, -v[94:95]
	s_waitcnt vmcnt(0) lgkmcnt(12)
	v_mul_f64 v[88:89], v[86:87], v[136:137]
	v_fma_f64 v[88:89], v[84:85], v[134:135], -v[88:89]
	v_mul_f64 v[84:85], v[84:85], v[136:137]
	v_fmac_f64_e32 v[84:85], v[86:87], v[134:135]
	v_mul_lo_u16_e32 v86, 60, v200
	v_sub_u16_e32 v201, v175, v86
	v_accvgpr_write_b32 a229, v137
	v_lshlrev_b32_e32 v86, 4, v201
	v_accvgpr_write_b32 a228, v136
	v_accvgpr_write_b32 a227, v135
	;; [unrolled: 1-line block ×3, first 2 shown]
	global_load_dwordx4 v[134:137], v86, s[10:11] offset:800
	v_add_f64 v[84:85], v[26:27], -v[84:85]
	v_fma_f64 v[26:27], v[26:27], 2.0, -v[84:85]
	s_waitcnt vmcnt(0) lgkmcnt(10)
	v_mul_f64 v[86:87], v[82:83], v[136:137]
	v_fma_f64 v[90:91], v[80:81], v[134:135], -v[86:87]
	v_mul_f64 v[86:87], v[80:81], v[136:137]
	v_mul_lo_u16_e32 v80, 60, v202
	v_sub_u16_e32 v203, v176, v80
	v_accvgpr_write_b32 a217, v137
	v_lshlrev_b32_e32 v80, 4, v203
	v_fmac_f64_e32 v[86:87], v[82:83], v[134:135]
	v_accvgpr_write_b32 a216, v136
	v_accvgpr_write_b32 a215, v135
	;; [unrolled: 1-line block ×3, first 2 shown]
	global_load_dwordx4 v[134:137], v80, s[10:11] offset:800
	v_add_f64 v[82:83], v[24:25], -v[88:89]
	v_fma_f64 v[24:25], v[24:25], 2.0, -v[82:83]
	v_add_f64 v[88:89], v[20:21], -v[90:91]
	v_add_f64 v[90:91], v[22:23], -v[86:87]
	v_fma_f64 v[20:21], v[20:21], 2.0, -v[88:89]
	v_fma_f64 v[22:23], v[22:23], 2.0, -v[90:91]
	s_waitcnt vmcnt(0) lgkmcnt(8)
	v_mul_f64 v[80:81], v[78:79], v[136:137]
	v_accvgpr_write_b32 a213, v137
	v_fma_f64 v[80:81], v[76:77], v[134:135], -v[80:81]
	v_mul_f64 v[76:77], v[76:77], v[136:137]
	v_accvgpr_write_b32 a212, v136
	v_accvgpr_write_b32 a211, v135
	;; [unrolled: 1-line block ×3, first 2 shown]
	v_mul_u32_u24_e32 v137, 0x889, v179
	v_lshrrev_b32_e32 v204, 17, v137
	v_fmac_f64_e32 v[76:77], v[78:79], v[134:135]
	v_mul_lo_u16_e32 v78, 60, v204
	v_sub_u16_e32 v205, v179, v78
	v_lshlrev_b32_e32 v78, 4, v205
	global_load_dwordx4 v[160:163], v78, s[10:11] offset:800
	v_mul_u32_u24_e32 v136, 0x889, v174
	v_lshrrev_b32_e32 v206, 17, v136
	v_mul_u32_u24_e32 v135, 0x889, v177
	v_lshrrev_b32_e32 v208, 17, v135
	v_mul_u32_u24_e32 v134, 0x889, v178
	v_lshrrev_b32_e32 v210, 17, v134
	s_waitcnt vmcnt(0) lgkmcnt(6)
	v_mul_f64 v[78:79], v[74:75], v[162:163]
	v_pk_mov_b32 v[164:165], v[162:163], v[162:163] op_sel:[0,1]
	v_fma_f64 v[158:159], v[72:73], v[160:161], -v[78:79]
	v_pk_mov_b32 v[162:163], v[160:161], v[160:161] op_sel:[0,1]
	v_mul_f64 v[160:161], v[72:73], v[164:165]
	v_mul_lo_u16_e32 v72, 60, v206
	v_sub_u16_e32 v207, v174, v72
	v_lshlrev_b32_e32 v72, 4, v207
	global_load_dwordx4 v[166:169], v72, s[10:11] offset:800
	v_accvgpr_write_b32 a201, v165
	v_fmac_f64_e32 v[160:161], v[74:75], v[162:163]
	v_accvgpr_write_b32 a200, v164
	v_accvgpr_write_b32 a199, v163
	;; [unrolled: 1-line block ×3, first 2 shown]
	v_add_f64 v[78:79], v[16:17], -v[80:81]
	v_add_f64 v[80:81], v[18:19], -v[76:77]
	v_mul_u32_u24_e32 v76, 0x78, v131
	v_add_lshl_u32 v76, v76, v132, 4
	v_add_f64 v[74:75], v[46:47], -v[110:111]
	v_fma_f64 v[46:47], v[46:47], 2.0, -v[74:75]
	v_add_f64 v[110:111], v[42:43], -v[100:101]
	v_fma_f64 v[42:43], v[42:43], 2.0, -v[110:111]
	;; [unrolled: 2-line block ×5, first 2 shown]
	v_fma_f64 v[16:17], v[16:17], 2.0, -v[78:79]
	v_fma_f64 v[18:19], v[18:19], 2.0, -v[80:81]
	v_add_f64 v[98:99], v[14:15], -v[160:161]
	v_fma_f64 v[14:15], v[14:15], 2.0, -v[98:99]
	s_waitcnt vmcnt(0) lgkmcnt(4)
	v_mul_f64 v[72:73], v[70:71], v[168:169]
	v_fma_f64 v[162:163], v[68:69], v[166:167], -v[72:73]
	v_mul_f64 v[164:165], v[68:69], v[168:169]
	v_mul_lo_u16_e32 v68, 60, v208
	v_sub_u16_e32 v209, v177, v68
	v_lshlrev_b32_e32 v68, 4, v209
	v_fmac_f64_e32 v[164:165], v[70:71], v[166:167]
	global_load_dwordx4 v[70:73], v68, s[10:11] offset:800
	v_accvgpr_write_b32 a197, v169
	v_accvgpr_write_b32 a196, v168
	;; [unrolled: 1-line block ×4, first 2 shown]
	s_waitcnt vmcnt(0) lgkmcnt(2)
	v_mul_f64 v[68:69], v[66:67], v[72:73]
	v_fma_f64 v[166:167], v[64:65], v[70:71], -v[68:69]
	v_mul_f64 v[168:169], v[64:65], v[72:73]
	v_mul_lo_u16_e32 v64, 60, v210
	v_sub_u16_e32 v211, v178, v64
	v_lshlrev_b32_e32 v64, 4, v211
	v_fmac_f64_e32 v[168:169], v[66:67], v[70:71]
	global_load_dwordx4 v[66:69], v64, s[10:11] offset:800
	s_waitcnt lgkmcnt(0)
	s_barrier
	buffer_store_dword v76, off, s[40:43], 0 offset:684 ; 4-byte Folded Spill
	v_accvgpr_write_b32 a177, v73
	v_accvgpr_write_b32 a176, v72
	;; [unrolled: 1-line block ×4, first 2 shown]
	v_add_f64 v[70:71], v[50:51], -v[108:109]
	v_fma_f64 v[50:51], v[50:51], 2.0, -v[70:71]
	v_add_f64 v[72:73], v[44:45], -v[114:115]
	v_fma_f64 v[44:45], v[44:45], 2.0, -v[72:73]
	;; [unrolled: 2-line block ×6, first 2 shown]
	s_waitcnt vmcnt(1)
	v_mul_f64 v[64:65], v[62:63], v[68:69]
	v_mul_f64 v[198:199], v[60:61], v[68:69]
	v_fma_f64 v[196:197], v[60:61], v[66:67], -v[64:65]
	v_fmac_f64_e32 v[198:199], v[62:63], v[66:67]
	v_add_f64 v[60:61], v[56:57], -v[120:121]
	v_add_f64 v[62:63], v[58:59], -v[116:117]
	v_accvgpr_write_b32 a173, v69
	v_fma_f64 v[56:57], v[56:57], 2.0, -v[60:61]
	v_fma_f64 v[58:59], v[58:59], 2.0, -v[62:63]
	v_accvgpr_write_b32 a172, v68
	v_accvgpr_write_b32 a171, v67
	;; [unrolled: 1-line block ×3, first 2 shown]
	v_add_f64 v[64:65], v[52:53], -v[122:123]
	v_add_f64 v[66:67], v[54:55], -v[118:119]
	ds_write_b128 v76, v[56:59]
	ds_write_b128 v76, v[60:63] offset:960
	v_mul_u32_u24_e32 v56, 0x78, v133
	v_fma_f64 v[52:53], v[52:53], 2.0, -v[64:65]
	v_fma_f64 v[54:55], v[54:55], 2.0, -v[66:67]
	v_add_lshl_u32 v56, v56, v145, 4
	v_add_f64 v[68:69], v[48:49], -v[112:113]
	buffer_store_dword v56, off, s[40:43], 0 offset:560 ; 4-byte Folded Spill
	ds_write_b128 v56, v[52:55]
	ds_write_b128 v56, v[64:67] offset:960
	v_mad_legacy_u16 v52, v146, s36, v147
	v_fma_f64 v[48:49], v[48:49], 2.0, -v[68:69]
	v_lshlrev_b32_e32 v52, 4, v52
	buffer_store_dword v52, off, s[40:43], 0 offset:664 ; 4-byte Folded Spill
	ds_write_b128 v52, v[48:51]
	ds_write_b128 v52, v[68:71] offset:960
	v_mad_legacy_u16 v48, v148, s36, v149
	v_lshlrev_b32_e32 v48, 4, v48
	buffer_store_dword v48, off, s[40:43], 0 offset:660 ; 4-byte Folded Spill
	ds_write_b128 v48, v[44:47]
	ds_write_b128 v48, v[72:75] offset:960
	v_mad_legacy_u16 v44, v150, s36, v151
	;; [unrolled: 5-line block ×9, first 2 shown]
	v_lshlrev_b32_e32 v16, 4, v16
	v_add_f64 v[112:113], v[8:9], -v[162:163]
	buffer_store_dword v16, off, s[40:43], 0 offset:508 ; 4-byte Folded Spill
	ds_write_b128 v16, v[12:15]
	ds_write_b128 v16, v[96:99] offset:960
	v_mad_legacy_u16 v12, v206, s36, v207
	v_fma_f64 v[8:9], v[8:9], 2.0, -v[112:113]
	v_lshlrev_b32_e32 v12, 4, v12
	v_add_f64 v[116:117], v[4:5], -v[166:167]
	v_add_f64 v[118:119], v[6:7], -v[168:169]
	buffer_store_dword v12, off, s[40:43], 0 offset:440 ; 4-byte Folded Spill
	ds_write_b128 v12, v[8:11]
	ds_write_b128 v12, v[112:115] offset:960
	v_mad_legacy_u16 v8, v208, s36, v209
	v_fma_f64 v[4:5], v[4:5], 2.0, -v[116:117]
	v_fma_f64 v[6:7], v[6:7], 2.0, -v[118:119]
	v_lshlrev_b32_e32 v8, 4, v8
	v_add_f64 v[120:121], v[0:1], -v[196:197]
	v_add_f64 v[122:123], v[2:3], -v[198:199]
	buffer_store_dword v8, off, s[40:43], 0 offset:436 ; 4-byte Folded Spill
	ds_write_b128 v8, v[4:7]
	ds_write_b128 v8, v[116:119] offset:960
	v_mad_legacy_u16 v4, v210, s36, v211
	v_fma_f64 v[0:1], v[0:1], 2.0, -v[120:121]
	v_fma_f64 v[2:3], v[2:3], 2.0, -v[122:123]
	v_lshlrev_b32_e32 v4, 4, v4
	buffer_store_dword v4, off, s[40:43], 0 offset:288 ; 4-byte Folded Spill
	ds_write_b128 v4, v[0:3]
	ds_write_b128 v4, v[120:123] offset:960
	v_add_co_u32_e32 v120, vcc, s37, v188
	v_addc_co_u32_e64 v121, s[38:39], 0, -1, vcc
	v_cmp_gt_u32_e32 vcc, s36, v188
	v_cndmask_b32_e64 v121, v121, 0, vcc
	v_cndmask_b32_e32 v120, v120, v188, vcc
	v_lshlrev_b64 v[122:123], 4, v[120:121]
	v_add_co_u32_e32 v122, vcc, s10, v122
	v_addc_co_u32_e32 v123, vcc, v193, v123, vcc
	s_waitcnt lgkmcnt(0)
	s_barrier
	ds_read_b128 v[56:59], v171
	ds_read_b128 v[116:119], v171 offset:30720
	ds_read_b128 v[52:55], v171 offset:2048
	ds_read_b128 v[112:115], v171 offset:32768
	ds_read_b128 v[48:51], v171 offset:4096
	ds_read_b128 v[108:111], v171 offset:34816
	ds_read_b128 v[44:47], v171 offset:6144
	ds_read_b128 v[104:107], v171 offset:36864
	ds_read_b128 v[40:43], v171 offset:8192
	ds_read_b128 v[100:103], v171 offset:38912
	ds_read_b128 v[36:39], v171 offset:10240
	ds_read_b128 v[96:99], v171 offset:40960
	ds_read_b128 v[32:35], v171 offset:12288
	ds_read_b128 v[92:95], v171 offset:43008
	ds_read_b128 v[28:31], v171 offset:14336
	ds_read_b128 v[88:91], v171 offset:45056
	ds_read_b128 v[24:27], v171 offset:16384
	ds_read_b128 v[84:87], v171 offset:47104
	ds_read_b128 v[20:23], v171 offset:18432
	ds_read_b128 v[80:83], v171 offset:49152
	ds_read_b128 v[16:19], v171 offset:20480
	ds_read_b128 v[76:79], v171 offset:51200
	ds_read_b128 v[12:15], v171 offset:22528
	ds_read_b128 v[72:75], v171 offset:53248
	ds_read_b128 v[8:11], v171 offset:24576
	ds_read_b128 v[68:71], v171 offset:55296
	ds_read_b128 v[4:7], v171 offset:26624
	ds_read_b128 v[64:67], v171 offset:57344
	ds_read_b128 v[0:3], v171 offset:28672
	ds_read_b128 v[60:63], v171 offset:59392
	global_load_dwordx4 v[146:149], v[122:123], off offset:1760
	v_lshrrev_b16_e32 v121, 14, v130
	v_mul_u32_u24_e32 v145, 0x223, v126
	v_lshrrev_b32_e32 v194, 18, v139
	v_lshrrev_b32_e32 v202, 18, v138
	;; [unrolled: 1-line block ×6, first 2 shown]
	s_movk_i32 s36, 0x77
	v_cmp_lt_u32_e32 vcc, s36, v188
	s_movk_i32 s36, 0xf0
	s_waitcnt vmcnt(0) lgkmcnt(14)
	v_mul_f64 v[122:123], v[118:119], v[148:149]
	v_fma_f64 v[122:123], v[116:117], v[146:147], -v[122:123]
	v_mul_f64 v[116:117], v[116:117], v[148:149]
	v_fmac_f64_e32 v[116:117], v[118:119], v[146:147]
	v_mul_lo_u16_e32 v118, 0x78, v121
	v_sub_u16_e32 v118, v128, v118
	v_and_b32_e32 v132, 0xff, v118
	v_accvgpr_write_b32 a237, v149
	v_lshlrev_b32_e32 v118, 4, v132
	v_accvgpr_write_b32 a236, v148
	v_accvgpr_write_b32 a235, v147
	;; [unrolled: 1-line block ×3, first 2 shown]
	global_load_dwordx4 v[146:149], v118, s[10:11] offset:1760
	s_waitcnt vmcnt(0)
	v_mul_f64 v[118:119], v[114:115], v[148:149]
	v_fma_f64 v[130:131], v[112:113], v[146:147], -v[118:119]
	v_mul_f64 v[118:119], v[112:113], v[148:149]
	v_mul_u32_u24_e32 v112, 0x223, v192
	v_lshrrev_b32_e32 v133, 16, v112
	v_accvgpr_write_b32 a225, v149
	v_mul_lo_u16_e32 v112, 0x78, v133
	v_fmac_f64_e32 v[118:119], v[114:115], v[146:147]
	v_accvgpr_write_b32 a224, v148
	v_accvgpr_write_b32 a223, v147
	;; [unrolled: 1-line block ×3, first 2 shown]
	v_sub_u16_e32 v146, v192, v112
	v_lshlrev_b32_e32 v112, 4, v146
	global_load_dwordx4 v[148:151], v112, s[10:11] offset:1760
	v_lshrrev_b32_e32 v147, 16, v145
	s_waitcnt vmcnt(0)
	v_mul_f64 v[112:113], v[110:111], v[150:151]
	v_fma_f64 v[112:113], v[108:109], v[148:149], -v[112:113]
	v_mul_f64 v[108:109], v[108:109], v[150:151]
	v_fmac_f64_e32 v[108:109], v[110:111], v[148:149]
	v_accvgpr_write_b32 a221, v151
	v_mul_lo_u16_e32 v110, 0x78, v147
	v_accvgpr_write_b32 a220, v150
	v_accvgpr_write_b32 a219, v149
	;; [unrolled: 1-line block ×3, first 2 shown]
	v_sub_u16_e32 v148, v126, v110
	v_lshlrev_b32_e32 v110, 4, v148
	global_load_dwordx4 v[150:153], v110, s[10:11] offset:1760
	v_lshrrev_b32_e32 v149, 17, v142
	s_waitcnt vmcnt(0)
	v_mul_f64 v[110:111], v[106:107], v[152:153]
	v_fma_f64 v[114:115], v[104:105], v[150:151], -v[110:111]
	v_mul_f64 v[110:111], v[104:105], v[152:153]
	v_accvgpr_write_b32 a209, v153
	v_mul_lo_u16_e32 v104, 0x78, v149
	v_fmac_f64_e32 v[110:111], v[106:107], v[150:151]
	v_accvgpr_write_b32 a208, v152
	v_accvgpr_write_b32 a207, v151
	;; [unrolled: 1-line block ×3, first 2 shown]
	v_sub_u16_e32 v150, v190, v104
	v_lshlrev_b32_e32 v104, 4, v150
	global_load_dwordx4 v[152:155], v104, s[10:11] offset:1760
	v_lshrrev_b32_e32 v151, 17, v143
	s_waitcnt vmcnt(0)
	v_mul_f64 v[104:105], v[102:103], v[154:155]
	v_fma_f64 v[104:105], v[100:101], v[152:153], -v[104:105]
	v_mul_f64 v[100:101], v[100:101], v[154:155]
	v_fmac_f64_e32 v[100:101], v[102:103], v[152:153]
	v_accvgpr_write_b32 a205, v155
	v_mul_lo_u16_e32 v102, 0x78, v151
	v_accvgpr_write_b32 a204, v154
	v_accvgpr_write_b32 a203, v153
	;; [unrolled: 1-line block ×3, first 2 shown]
	v_sub_u16_e32 v152, v191, v102
	v_lshlrev_b32_e32 v102, 4, v152
	global_load_dwordx4 v[154:157], v102, s[10:11] offset:1760
	v_lshrrev_b32_e32 v153, 17, v144
	s_waitcnt vmcnt(0)
	v_mul_f64 v[102:103], v[98:99], v[156:157]
	v_fma_f64 v[106:107], v[96:97], v[154:155], -v[102:103]
	v_mul_f64 v[102:103], v[96:97], v[156:157]
	v_accvgpr_write_b32 a193, v157
	v_mul_lo_u16_e32 v96, 0x78, v153
	v_fmac_f64_e32 v[102:103], v[98:99], v[154:155]
	v_accvgpr_write_b32 a192, v156
	v_accvgpr_write_b32 a191, v155
	;; [unrolled: 1-line block ×3, first 2 shown]
	v_sub_u16_e32 v154, v181, v96
	v_lshlrev_b32_e32 v96, 4, v154
	global_load_dwordx4 v[156:159], v96, s[10:11] offset:1760
	v_lshrrev_b32_e32 v155, 17, v141
	v_add_f64 v[102:103], v[38:39], -v[102:103]
	v_fma_f64 v[38:39], v[38:39], 2.0, -v[102:103]
	s_waitcnt vmcnt(0)
	v_mul_f64 v[96:97], v[94:95], v[158:159]
	v_fma_f64 v[96:97], v[92:93], v[156:157], -v[96:97]
	v_mul_f64 v[92:93], v[92:93], v[158:159]
	v_fmac_f64_e32 v[92:93], v[94:95], v[156:157]
	v_accvgpr_write_b32 a185, v159
	v_mul_lo_u16_e32 v94, 0x78, v155
	v_accvgpr_write_b32 a184, v158
	v_accvgpr_write_b32 a183, v157
	;; [unrolled: 1-line block ×3, first 2 shown]
	v_sub_u16_e32 v156, v124, v94
	v_lshlrev_b32_e32 v94, 4, v156
	global_load_dwordx4 v[158:161], v94, s[10:11] offset:1760
	v_lshrrev_b32_e32 v157, 18, v140
	v_add_f64 v[92:93], v[34:35], -v[92:93]
	v_fma_f64 v[34:35], v[34:35], 2.0, -v[92:93]
	s_waitcnt vmcnt(0)
	v_mul_f64 v[94:95], v[90:91], v[160:161]
	v_fma_f64 v[98:99], v[88:89], v[158:159], -v[94:95]
	v_mul_f64 v[94:95], v[88:89], v[160:161]
	v_mul_lo_u16_e32 v88, 0x78, v157
	v_sub_u16_e32 v192, v180, v88
	v_accvgpr_write_b32 a169, v161
	v_lshlrev_b32_e32 v88, 4, v192
	v_fmac_f64_e32 v[94:95], v[90:91], v[158:159]
	v_accvgpr_write_b32 a168, v160
	v_accvgpr_write_b32 a167, v159
	;; [unrolled: 1-line block ×3, first 2 shown]
	global_load_dwordx4 v[158:161], v88, s[10:11] offset:1760
	v_add_f64 v[90:91], v[32:33], -v[96:97]
	v_fma_f64 v[32:33], v[32:33], 2.0, -v[90:91]
	v_add_f64 v[96:97], v[28:29], -v[98:99]
	v_add_f64 v[98:99], v[30:31], -v[94:95]
	v_fma_f64 v[28:29], v[28:29], 2.0, -v[96:97]
	v_fma_f64 v[30:31], v[30:31], 2.0, -v[98:99]
	s_waitcnt vmcnt(0) lgkmcnt(12)
	v_mul_f64 v[88:89], v[86:87], v[160:161]
	v_fma_f64 v[88:89], v[84:85], v[158:159], -v[88:89]
	v_mul_f64 v[84:85], v[84:85], v[160:161]
	v_fmac_f64_e32 v[84:85], v[86:87], v[158:159]
	v_mul_lo_u16_e32 v86, 0x78, v194
	v_sub_u16_e32 v195, v175, v86
	v_accvgpr_write_b32 a165, v161
	v_lshlrev_b32_e32 v86, 4, v195
	v_accvgpr_write_b32 a164, v160
	v_accvgpr_write_b32 a163, v159
	;; [unrolled: 1-line block ×3, first 2 shown]
	global_load_dwordx4 v[160:163], v86, s[10:11] offset:1760
	v_add_f64 v[84:85], v[26:27], -v[84:85]
	v_fma_f64 v[26:27], v[26:27], 2.0, -v[84:85]
	s_waitcnt vmcnt(0) lgkmcnt(10)
	v_mul_f64 v[86:87], v[82:83], v[162:163]
	v_fma_f64 v[158:159], v[80:81], v[160:161], -v[86:87]
	v_mul_f64 v[86:87], v[80:81], v[162:163]
	v_mul_lo_u16_e32 v80, 0x78, v202
	v_sub_u16_e32 v203, v176, v80
	v_accvgpr_write_b32 a154, v160
	v_lshlrev_b32_e32 v80, 4, v203
	v_fmac_f64_e32 v[86:87], v[82:83], v[160:161]
	v_accvgpr_write_b32 a155, v161
	v_accvgpr_write_b32 a156, v162
	;; [unrolled: 1-line block ×3, first 2 shown]
	global_load_dwordx4 v[160:163], v80, s[10:11] offset:1760
	v_add_f64 v[82:83], v[24:25], -v[88:89]
	v_fma_f64 v[24:25], v[24:25], 2.0, -v[82:83]
	s_waitcnt vmcnt(0) lgkmcnt(8)
	v_mul_f64 v[80:81], v[78:79], v[162:163]
	v_fma_f64 v[80:81], v[76:77], v[160:161], -v[80:81]
	v_mul_f64 v[76:77], v[76:77], v[162:163]
	v_fmac_f64_e32 v[76:77], v[78:79], v[160:161]
	v_mul_lo_u16_e32 v78, 0x78, v204
	v_sub_u16_e32 v205, v179, v78
	v_accvgpr_write_b32 a241, v163
	v_lshlrev_b32_e32 v78, 4, v205
	v_accvgpr_write_b32 a240, v162
	v_accvgpr_write_b32 a239, v161
	;; [unrolled: 1-line block ×3, first 2 shown]
	global_load_dwordx4 v[162:165], v78, s[10:11] offset:1760
	s_waitcnt vmcnt(0) lgkmcnt(6)
	v_mul_f64 v[78:79], v[74:75], v[164:165]
	v_pk_mov_b32 v[166:167], v[164:165], v[164:165] op_sel:[0,1]
	v_fma_f64 v[160:161], v[72:73], v[162:163], -v[78:79]
	v_pk_mov_b32 v[164:165], v[162:163], v[162:163] op_sel:[0,1]
	v_mul_f64 v[162:163], v[72:73], v[166:167]
	v_mul_lo_u16_e32 v72, 0x78, v206
	v_sub_u16_e32 v207, v174, v72
	v_lshlrev_b32_e32 v72, 4, v207
	global_load_dwordx4 v[196:199], v72, s[10:11] offset:1760
	v_accvgpr_write_b32 a146, v164
	v_fmac_f64_e32 v[162:163], v[74:75], v[164:165]
	v_accvgpr_write_b32 a147, v165
	v_accvgpr_write_b32 a148, v166
	;; [unrolled: 1-line block ×3, first 2 shown]
	v_add_f64 v[78:79], v[16:17], -v[80:81]
	v_add_f64 v[80:81], v[18:19], -v[76:77]
	v_mov_b32_e32 v76, 0xf0
	v_cndmask_b32_e32 v76, 0, v76, vcc
	v_add_lshl_u32 v76, v120, v76, 4
	v_add_f64 v[74:75], v[46:47], -v[110:111]
	v_fma_f64 v[46:47], v[46:47], 2.0, -v[74:75]
	v_add_f64 v[110:111], v[42:43], -v[100:101]
	v_fma_f64 v[42:43], v[42:43], 2.0, -v[110:111]
	;; [unrolled: 2-line block ×4, first 2 shown]
	v_fma_f64 v[16:17], v[16:17], 2.0, -v[78:79]
	v_fma_f64 v[18:19], v[18:19], 2.0, -v[80:81]
	v_add_f64 v[86:87], v[12:13], -v[160:161]
	v_add_f64 v[88:89], v[14:15], -v[162:163]
	v_fma_f64 v[12:13], v[12:13], 2.0, -v[86:87]
	v_fma_f64 v[14:15], v[14:15], 2.0, -v[88:89]
	s_waitcnt vmcnt(0) lgkmcnt(4)
	v_mul_f64 v[72:73], v[70:71], v[198:199]
	v_fma_f64 v[164:165], v[68:69], v[196:197], -v[72:73]
	v_mul_f64 v[166:167], v[68:69], v[198:199]
	v_mul_lo_u16_e32 v68, 0x78, v208
	v_sub_u16_e32 v209, v177, v68
	v_lshlrev_b32_e32 v68, 4, v209
	v_fmac_f64_e32 v[166:167], v[70:71], v[196:197]
	global_load_dwordx4 v[70:73], v68, s[10:11] offset:1760
	v_accvgpr_write_b32 a132, v196
	v_accvgpr_write_b32 a133, v197
	;; [unrolled: 1-line block ×4, first 2 shown]
	s_waitcnt vmcnt(0) lgkmcnt(2)
	v_mul_f64 v[68:69], v[66:67], v[72:73]
	v_fma_f64 v[168:169], v[64:65], v[70:71], -v[68:69]
	v_mul_f64 v[196:197], v[64:65], v[72:73]
	v_mul_lo_u16_e32 v64, 0x78, v210
	v_sub_u16_e32 v211, v178, v64
	v_lshlrev_b32_e32 v64, 4, v211
	v_fmac_f64_e32 v[196:197], v[66:67], v[70:71]
	global_load_dwordx4 v[66:69], v64, s[10:11] offset:1760
	s_waitcnt lgkmcnt(0)
	s_barrier
	buffer_store_dword v76, off, s[40:43], 0 offset:688 ; 4-byte Folded Spill
	v_accvgpr_write_b32 a115, v73
	v_accvgpr_write_b32 a114, v72
	;; [unrolled: 1-line block ×4, first 2 shown]
	v_add_f64 v[70:71], v[50:51], -v[108:109]
	v_fma_f64 v[50:51], v[50:51], 2.0, -v[70:71]
	v_add_f64 v[72:73], v[44:45], -v[114:115]
	v_fma_f64 v[44:45], v[44:45], 2.0, -v[72:73]
	;; [unrolled: 2-line block ×5, first 2 shown]
	v_add_co_u32_e32 v166, vcc, s10, v171
	v_addc_co_u32_e32 v167, vcc, 0, v193, vcc
	s_waitcnt vmcnt(1)
	v_mul_f64 v[64:65], v[62:63], v[68:69]
	v_mul_f64 v[200:201], v[60:61], v[68:69]
	v_fma_f64 v[198:199], v[60:61], v[66:67], -v[64:65]
	v_fmac_f64_e32 v[200:201], v[62:63], v[66:67]
	v_add_f64 v[60:61], v[56:57], -v[122:123]
	v_add_f64 v[62:63], v[58:59], -v[116:117]
	v_accvgpr_write_b32 a107, v69
	v_fma_f64 v[56:57], v[56:57], 2.0, -v[60:61]
	v_fma_f64 v[58:59], v[58:59], 2.0, -v[62:63]
	v_accvgpr_write_b32 a106, v68
	v_accvgpr_write_b32 a105, v67
	;; [unrolled: 1-line block ×3, first 2 shown]
	v_add_f64 v[64:65], v[52:53], -v[130:131]
	v_add_f64 v[66:67], v[54:55], -v[118:119]
	ds_write_b128 v76, v[56:59]
	ds_write_b128 v76, v[60:63] offset:1920
	v_mul_u32_u24_e32 v56, 0xf0, v121
	v_fma_f64 v[52:53], v[52:53], 2.0, -v[64:65]
	v_fma_f64 v[54:55], v[54:55], 2.0, -v[66:67]
	v_add_lshl_u32 v56, v56, v132, 4
	v_add_f64 v[68:69], v[48:49], -v[112:113]
	buffer_store_dword v56, off, s[40:43], 0 offset:604 ; 4-byte Folded Spill
	ds_write_b128 v56, v[52:55]
	ds_write_b128 v56, v[64:67] offset:1920
	v_mad_legacy_u16 v52, v133, s36, v146
	v_fma_f64 v[48:49], v[48:49], 2.0, -v[68:69]
	v_lshlrev_b32_e32 v52, 4, v52
	buffer_store_dword v52, off, s[40:43], 0 offset:908 ; 4-byte Folded Spill
	ds_write_b128 v52, v[48:51]
	ds_write_b128 v52, v[68:71] offset:1920
	v_mad_legacy_u16 v48, v147, s36, v148
	v_lshlrev_b32_e32 v48, 4, v48
	buffer_store_dword v48, off, s[40:43], 0 offset:792 ; 4-byte Folded Spill
	ds_write_b128 v48, v[44:47]
	ds_write_b128 v48, v[72:75] offset:1920
	v_mad_legacy_u16 v44, v149, s36, v150
	;; [unrolled: 5-line block ×9, first 2 shown]
	v_lshlrev_b32_e32 v16, 4, v16
	v_add_f64 v[112:113], v[8:9], -v[164:165]
	buffer_store_dword v16, off, s[40:43], 0 offset:744 ; 4-byte Folded Spill
	ds_write_b128 v16, v[12:15]
	ds_write_b128 v16, v[86:89] offset:1920
	v_mad_legacy_u16 v12, v206, s36, v207
	v_fma_f64 v[8:9], v[8:9], 2.0, -v[112:113]
	v_lshlrev_b32_e32 v12, 4, v12
	v_add_f64 v[116:117], v[4:5], -v[168:169]
	v_add_f64 v[118:119], v[6:7], -v[196:197]
	buffer_store_dword v12, off, s[40:43], 0 offset:740 ; 4-byte Folded Spill
	ds_write_b128 v12, v[8:11]
	ds_write_b128 v12, v[112:115] offset:1920
	v_mad_legacy_u16 v8, v208, s36, v209
	v_fma_f64 v[4:5], v[4:5], 2.0, -v[116:117]
	v_fma_f64 v[6:7], v[6:7], 2.0, -v[118:119]
	v_lshlrev_b32_e32 v8, 4, v8
	v_add_f64 v[158:159], v[0:1], -v[198:199]
	v_add_f64 v[160:161], v[2:3], -v[200:201]
	buffer_store_dword v8, off, s[40:43], 0 offset:720 ; 4-byte Folded Spill
	ds_write_b128 v8, v[4:7]
	ds_write_b128 v8, v[116:119] offset:1920
	v_mad_legacy_u16 v4, v210, s36, v211
	v_fma_f64 v[0:1], v[0:1], 2.0, -v[158:159]
	v_fma_f64 v[2:3], v[2:3], 2.0, -v[160:161]
	v_lshlrev_b32_e32 v4, 4, v4
	buffer_store_dword v4, off, s[40:43], 0 offset:716 ; 4-byte Folded Spill
	ds_write_b128 v4, v[0:3]
	ds_write_b128 v4, v[158:161] offset:1920
	s_waitcnt lgkmcnt(0)
	s_barrier
	ds_read_b128 v[56:59], v171
	ds_read_b128 v[116:119], v171 offset:30720
	ds_read_b128 v[52:55], v171 offset:2048
	;; [unrolled: 1-line block ×29, first 2 shown]
	global_load_dwordx4 v[130:133], v171, s[10:11] offset:3680
	s_movk_i32 s36, 0xff90
	v_lshrrev_b32_e32 v169, 19, v137
	s_waitcnt vmcnt(0) lgkmcnt(14)
	v_mul_f64 v[120:121], v[118:119], v[132:133]
	v_fma_f64 v[122:123], v[116:117], v[130:131], -v[120:121]
	v_mul_f64 v[120:121], v[116:117], v[132:133]
	v_add_co_u32_e32 v116, vcc, s36, v188
	v_addc_co_u32_e64 v117, s[36:37], 0, -1, vcc
	s_mov_b64 s[36:37], 0xf0
	v_cmp_gt_u64_e32 vcc, s[36:37], v[128:129]
	v_cndmask_b32_e32 v116, v116, v128, vcc
	v_cndmask_b32_e64 v117, v117, 0, vcc
	v_fmac_f64_e32 v[120:121], v[118:119], v[130:131]
	v_lshlrev_b64 v[118:119], 4, v[116:117]
	v_add_co_u32_e32 v118, vcc, s10, v118
	v_accvgpr_write_b32 a189, v133
	v_addc_co_u32_e32 v119, vcc, v193, v119, vcc
	v_accvgpr_write_b32 a188, v132
	v_accvgpr_write_b32 a187, v131
	;; [unrolled: 1-line block ×3, first 2 shown]
	global_load_dwordx4 v[130:133], v[118:119], off offset:3680
	v_lshrrev_b32_e32 v117, 17, v145
	s_mov_b64 s[36:37], 0xef
	v_cmp_lt_u64_e32 vcc, s[36:37], v[128:129]
	s_movk_i32 s36, 0x2000
	s_waitcnt vmcnt(0)
	v_mul_f64 v[118:119], v[114:115], v[132:133]
	v_fma_f64 v[118:119], v[112:113], v[130:131], -v[118:119]
	v_mul_f64 v[112:113], v[112:113], v[132:133]
	v_accvgpr_write_b32 a181, v133
	v_fmac_f64_e32 v[112:113], v[114:115], v[130:131]
	v_accvgpr_write_b32 a180, v132
	v_accvgpr_write_b32 a179, v131
	;; [unrolled: 1-line block ×3, first 2 shown]
	global_load_dwordx4 v[130:133], v171, s[10:11] offset:3936
	s_waitcnt vmcnt(0)
	v_mul_f64 v[114:115], v[110:111], v[132:133]
	v_fma_f64 v[114:115], v[108:109], v[130:131], -v[114:115]
	v_mul_f64 v[108:109], v[108:109], v[132:133]
	v_fmac_f64_e32 v[108:109], v[110:111], v[130:131]
	v_mul_lo_u16_e32 v110, 0xf0, v117
	v_sub_u16_e32 v145, v126, v110
	v_lshlrev_b32_e32 v110, 4, v145
	global_load_dwordx4 v[146:149], v110, s[10:11] offset:3680
	v_accvgpr_write_b32 a161, v133
	v_accvgpr_write_b32 a160, v132
	;; [unrolled: 1-line block ×4, first 2 shown]
	v_lshrrev_b32_e32 v132, 18, v141
	s_waitcnt vmcnt(0)
	v_mul_f64 v[110:111], v[106:107], v[148:149]
	v_fma_f64 v[130:131], v[104:105], v[146:147], -v[110:111]
	v_mul_f64 v[110:111], v[104:105], v[148:149]
	v_lshrrev_b32_e32 v104, 18, v142
	v_mul_lo_u16_e32 v104, 0xf0, v104
	v_sub_u16_e32 v104, v190, v104
	v_accvgpr_write_b32 a153, v149
	v_lshlrev_b32_e32 v192, 4, v104
	v_fmac_f64_e32 v[110:111], v[106:107], v[146:147]
	v_accvgpr_write_b32 a152, v148
	v_accvgpr_write_b32 a151, v147
	;; [unrolled: 1-line block ×3, first 2 shown]
	global_load_dwordx4 v[146:149], v192, s[10:11] offset:3680
	v_lshrrev_b32_e32 v142, 18, v143
	v_lshrrev_b32_e32 v190, 19, v135
	s_waitcnt vmcnt(0)
	v_mul_f64 v[104:105], v[102:103], v[148:149]
	v_fma_f64 v[104:105], v[100:101], v[146:147], -v[104:105]
	v_mul_f64 v[100:101], v[100:101], v[148:149]
	v_fmac_f64_e32 v[100:101], v[102:103], v[146:147]
	v_mul_lo_u16_e32 v102, 0xf0, v142
	v_sub_u16_e32 v143, v191, v102
	v_accvgpr_write_b32 a136, v146
	v_lshlrev_b32_e32 v102, 4, v143
	v_accvgpr_write_b32 a137, v147
	v_accvgpr_write_b32 a138, v148
	;; [unrolled: 1-line block ×3, first 2 shown]
	global_load_dwordx4 v[146:149], v102, s[10:11] offset:3680
	s_waitcnt vmcnt(0)
	v_mul_f64 v[102:103], v[98:99], v[148:149]
	v_fma_f64 v[106:107], v[96:97], v[146:147], -v[102:103]
	v_mul_f64 v[102:103], v[96:97], v[148:149]
	v_lshrrev_b32_e32 v96, 18, v144
	v_mul_lo_u16_e32 v96, 0xf0, v96
	v_sub_u16_e32 v96, v181, v96
	v_accvgpr_write_b32 a142, v146
	v_lshlrev_b32_e32 v194, 4, v96
	v_fmac_f64_e32 v[102:103], v[98:99], v[146:147]
	v_accvgpr_write_b32 a143, v147
	v_accvgpr_write_b32 a144, v148
	;; [unrolled: 1-line block ×3, first 2 shown]
	global_load_dwordx4 v[146:149], v194, s[10:11] offset:3680
	v_lshrrev_b32_e32 v144, 19, v139
	v_add_f64 v[102:103], v[38:39], -v[102:103]
	v_fma_f64 v[38:39], v[38:39], 2.0, -v[102:103]
	s_waitcnt vmcnt(0)
	v_mul_f64 v[96:97], v[94:95], v[148:149]
	v_fma_f64 v[96:97], v[92:93], v[146:147], -v[96:97]
	v_mul_f64 v[92:93], v[92:93], v[148:149]
	v_fmac_f64_e32 v[92:93], v[94:95], v[146:147]
	v_mul_lo_u16_e32 v94, 0xf0, v132
	v_sub_u16_e32 v133, v124, v94
	v_accvgpr_write_b32 a108, v146
	v_lshlrev_b32_e32 v94, 4, v133
	v_accvgpr_write_b32 a109, v147
	v_accvgpr_write_b32 a110, v148
	;; [unrolled: 1-line block ×3, first 2 shown]
	global_load_dwordx4 v[146:149], v94, s[10:11] offset:3680
	v_add_f64 v[92:93], v[34:35], -v[92:93]
	v_fma_f64 v[34:35], v[34:35], 2.0, -v[92:93]
	s_waitcnt vmcnt(0)
	v_mul_f64 v[94:95], v[90:91], v[148:149]
	v_fma_f64 v[98:99], v[88:89], v[146:147], -v[94:95]
	v_mul_f64 v[94:95], v[88:89], v[148:149]
	v_lshrrev_b32_e32 v88, 19, v140
	v_mul_lo_u16_e32 v88, 0xf0, v88
	v_sub_u16_e32 v88, v180, v88
	v_accvgpr_write_b32 a100, v146
	v_lshlrev_b32_e32 v195, 4, v88
	v_fmac_f64_e32 v[94:95], v[90:91], v[146:147]
	v_accvgpr_write_b32 a101, v147
	v_accvgpr_write_b32 a102, v148
	;; [unrolled: 1-line block ×3, first 2 shown]
	global_load_dwordx4 v[146:149], v195, s[10:11] offset:3680
	v_add_f64 v[90:91], v[32:33], -v[96:97]
	v_fma_f64 v[32:33], v[32:33], 2.0, -v[90:91]
	v_add_f64 v[96:97], v[28:29], -v[98:99]
	v_add_f64 v[98:99], v[30:31], -v[94:95]
	v_fma_f64 v[28:29], v[28:29], 2.0, -v[96:97]
	v_fma_f64 v[30:31], v[30:31], 2.0, -v[98:99]
	s_waitcnt vmcnt(0) lgkmcnt(12)
	v_mul_f64 v[88:89], v[86:87], v[148:149]
	v_fma_f64 v[88:89], v[84:85], v[146:147], -v[88:89]
	v_mul_f64 v[84:85], v[84:85], v[148:149]
	v_fmac_f64_e32 v[84:85], v[86:87], v[146:147]
	v_mul_lo_u16_e32 v86, 0xf0, v144
	v_sub_u16_e32 v168, v175, v86
	v_accvgpr_write_b32 a96, v146
	v_lshlrev_b32_e32 v86, 4, v168
	v_accvgpr_write_b32 a97, v147
	v_accvgpr_write_b32 a98, v148
	;; [unrolled: 1-line block ×3, first 2 shown]
	global_load_dwordx4 v[146:149], v86, s[10:11] offset:3680
	v_add_f64 v[84:85], v[26:27], -v[84:85]
	v_fma_f64 v[26:27], v[26:27], 2.0, -v[84:85]
	s_waitcnt vmcnt(0) lgkmcnt(10)
	v_mul_f64 v[86:87], v[82:83], v[148:149]
	v_pk_mov_b32 v[150:151], v[148:149], v[148:149] op_sel:[0,1]
	v_fma_f64 v[86:87], v[80:81], v[146:147], -v[86:87]
	v_pk_mov_b32 v[148:149], v[146:147], v[146:147] op_sel:[0,1]
	v_mul_f64 v[146:147], v[80:81], v[150:151]
	v_lshrrev_b32_e32 v80, 19, v138
	v_mul_lo_u16_e32 v80, 0xf0, v80
	v_sub_u16_e32 v80, v176, v80
	v_accvgpr_write_b32 a92, v148
	v_lshlrev_b32_e32 v196, 4, v80
	v_accvgpr_write_b32 a93, v149
	v_accvgpr_write_b32 a94, v150
	;; [unrolled: 1-line block ×3, first 2 shown]
	global_load_dwordx4 v[150:153], v196, s[10:11] offset:3680
	v_fmac_f64_e32 v[146:147], v[82:83], v[148:149]
	v_add_f64 v[86:87], v[20:21], -v[86:87]
	v_fma_f64 v[20:21], v[20:21], 2.0, -v[86:87]
	s_waitcnt vmcnt(0) lgkmcnt(8)
	v_mul_f64 v[80:81], v[78:79], v[152:153]
	v_fma_f64 v[148:149], v[76:77], v[150:151], -v[80:81]
	v_mul_f64 v[76:77], v[76:77], v[152:153]
	v_fmac_f64_e32 v[76:77], v[78:79], v[150:151]
	v_mul_lo_u16_e32 v78, 0xf0, v169
	v_sub_u16_e32 v181, v179, v78
	v_lshlrev_b32_e32 v78, 4, v181
	global_load_dwordx4 v[80:83], v78, s[10:11] offset:3680
	v_accvgpr_write_b32 a88, v150
	v_accvgpr_write_b32 a89, v151
	;; [unrolled: 1-line block ×4, first 2 shown]
	s_waitcnt vmcnt(0) lgkmcnt(6)
	v_mul_f64 v[78:79], v[74:75], v[82:83]
	v_fma_f64 v[150:151], v[72:73], v[80:81], -v[78:79]
	v_mul_f64 v[152:153], v[72:73], v[82:83]
	v_lshrrev_b32_e32 v72, 19, v136
	v_mul_lo_u16_e32 v72, 0xf0, v72
	v_sub_u16_e32 v72, v174, v72
	v_accvgpr_write_b32 a76, v80
	v_lshlrev_b32_e32 v197, 4, v72
	v_fmac_f64_e32 v[152:153], v[74:75], v[80:81]
	v_accvgpr_write_b32 a77, v81
	v_accvgpr_write_b32 a78, v82
	;; [unrolled: 1-line block ×3, first 2 shown]
	global_load_dwordx4 v[78:81], v197, s[10:11] offset:3680
	v_add_f64 v[74:75], v[46:47], -v[110:111]
	v_fma_f64 v[46:47], v[46:47], 2.0, -v[74:75]
	v_add_f64 v[82:83], v[24:25], -v[88:89]
	v_fma_f64 v[24:25], v[24:25], 2.0, -v[82:83]
	;; [unrolled: 2-line block ×4, first 2 shown]
	s_waitcnt vmcnt(0) lgkmcnt(4)
	v_mul_f64 v[72:73], v[70:71], v[80:81]
	v_fma_f64 v[154:155], v[68:69], v[78:79], -v[72:73]
	v_mul_f64 v[156:157], v[68:69], v[80:81]
	v_mul_lo_u16_e32 v68, 0xf0, v190
	v_sub_u16_e32 v191, v177, v68
	v_lshlrev_b32_e32 v68, 4, v191
	v_fmac_f64_e32 v[156:157], v[70:71], v[78:79]
	global_load_dwordx4 v[70:73], v68, s[10:11] offset:3680
	v_accvgpr_write_b32 a72, v78
	v_accvgpr_write_b32 a73, v79
	;; [unrolled: 1-line block ×4, first 2 shown]
	v_add_f64 v[78:79], v[40:41], -v[104:105]
	v_add_f64 v[80:81], v[42:43], -v[100:101]
	v_fma_f64 v[40:41], v[40:41], 2.0, -v[78:79]
	v_fma_f64 v[42:43], v[42:43], 2.0, -v[80:81]
	v_add_f64 v[100:101], v[36:37], -v[106:107]
	v_fma_f64 v[36:37], v[36:37], 2.0, -v[100:101]
	v_add_f64 v[104:105], v[16:17], -v[148:149]
	v_add_f64 v[106:107], v[18:19], -v[76:77]
	v_fma_f64 v[16:17], v[16:17], 2.0, -v[104:105]
	v_fma_f64 v[18:19], v[18:19], 2.0, -v[106:107]
	s_waitcnt vmcnt(0) lgkmcnt(2)
	v_mul_f64 v[68:69], v[66:67], v[72:73]
	v_fma_f64 v[158:159], v[64:65], v[70:71], -v[68:69]
	v_mul_f64 v[160:161], v[64:65], v[72:73]
	v_lshrrev_b32_e32 v64, 19, v134
	v_mul_lo_u16_e32 v64, 0xf0, v64
	v_sub_u16_e32 v64, v178, v64
	v_lshlrev_b32_e32 v198, 4, v64
	v_fmac_f64_e32 v[160:161], v[66:67], v[70:71]
	global_load_dwordx4 v[66:69], v198, s[10:11] offset:3680
	s_waitcnt lgkmcnt(0)
	s_barrier
	v_accvgpr_write_b32 a64, v70
	v_accvgpr_write_b32 a65, v71
	v_accvgpr_write_b32 a66, v72
	v_accvgpr_write_b32 a67, v73
	v_add_f64 v[70:71], v[50:51], -v[108:109]
	s_movk_i32 s11, 0x1e0
	v_fma_f64 v[50:51], v[50:51], 2.0, -v[70:71]
	v_add_f64 v[72:73], v[44:45], -v[130:131]
	v_fma_f64 v[44:45], v[44:45], 2.0, -v[72:73]
	v_add_f64 v[108:109], v[12:13], -v[150:151]
	v_fma_f64 v[12:13], v[12:13], 2.0, -v[108:109]
	s_waitcnt vmcnt(0)
	v_mul_f64 v[64:65], v[62:63], v[68:69]
	v_mul_f64 v[164:165], v[60:61], v[68:69]
	v_fma_f64 v[162:163], v[60:61], v[66:67], -v[64:65]
	v_fmac_f64_e32 v[164:165], v[62:63], v[66:67]
	v_add_f64 v[60:61], v[56:57], -v[122:123]
	v_add_f64 v[62:63], v[58:59], -v[120:121]
	v_fma_f64 v[56:57], v[56:57], 2.0, -v[60:61]
	v_fma_f64 v[58:59], v[58:59], 2.0, -v[62:63]
	v_accvgpr_write_b32 a60, v66
	ds_write_b128 v171, v[56:59]
	ds_write_b128 v171, v[60:63] offset:3840
	v_mov_b32_e32 v56, 0x1e0
	v_accvgpr_write_b32 a61, v67
	v_accvgpr_write_b32 a62, v68
	;; [unrolled: 1-line block ×3, first 2 shown]
	v_add_f64 v[64:65], v[52:53], -v[118:119]
	v_add_f64 v[66:67], v[54:55], -v[112:113]
	;; [unrolled: 1-line block ×3, first 2 shown]
	v_cndmask_b32_e32 v56, 0, v56, vcc
	v_fma_f64 v[52:53], v[52:53], 2.0, -v[64:65]
	v_fma_f64 v[54:55], v[54:55], 2.0, -v[66:67]
	;; [unrolled: 1-line block ×3, first 2 shown]
	v_add_lshl_u32 v56, v56, v116, 4
	buffer_store_dword v56, off, s[40:43], 0 offset:920 ; 4-byte Folded Spill
	ds_write_b128 v56, v[52:55]
	ds_write_b128 v56, v[64:67] offset:3840
	ds_write_b128 v171, v[48:51] offset:7936
	;; [unrolled: 1-line block ×3, first 2 shown]
	v_mad_legacy_u16 v48, v117, s11, v145
	v_lshlrev_b32_e32 v48, 4, v48
	buffer_store_dword v48, off, s[40:43], 0 offset:916 ; 4-byte Folded Spill
	ds_write_b128 v48, v[44:47]
	ds_write_b128 v48, v[72:75] offset:3840
	buffer_store_dword v192, off, s[40:43], 0 offset:1108 ; 4-byte Folded Spill
	ds_write_b128 v192, v[40:43] offset:15360
	ds_write_b128 v192, v[78:81] offset:19200
	v_mad_legacy_u16 v40, v142, s11, v143
	v_lshlrev_b32_e32 v40, 4, v40
	buffer_store_dword v40, off, s[40:43], 0 offset:1104 ; 4-byte Folded Spill
	ds_write_b128 v40, v[36:39]
	ds_write_b128 v40, v[100:103] offset:3840
	buffer_store_dword v194, off, s[40:43], 0 offset:1116 ; 4-byte Folded Spill
	ds_write_b128 v194, v[32:35] offset:23040
	ds_write_b128 v194, v[90:93] offset:26880
	;; [unrolled: 8-line block ×3, first 2 shown]
	v_mad_legacy_u16 v24, v144, s11, v168
	v_lshlrev_b32_e32 v24, 4, v24
	v_add_f64 v[112:113], v[8:9], -v[154:155]
	v_add_f64 v[114:115], v[10:11], -v[156:157]
	buffer_store_dword v24, off, s[40:43], 0 offset:1076 ; 4-byte Folded Spill
	ds_write_b128 v24, v[20:23]
	ds_write_b128 v24, v[86:89] offset:3840
	buffer_store_dword v196, off, s[40:43], 0 offset:960 ; 4-byte Folded Spill
	ds_write_b128 v196, v[16:19] offset:38400
	ds_write_b128 v196, v[104:107] offset:42240
	v_mad_legacy_u16 v16, v169, s11, v181
	v_fma_f64 v[8:9], v[8:9], 2.0, -v[112:113]
	v_fma_f64 v[10:11], v[10:11], 2.0, -v[114:115]
	v_lshlrev_b32_e32 v16, 4, v16
	buffer_store_dword v16, off, s[40:43], 0 offset:940 ; 4-byte Folded Spill
	ds_write_b128 v16, v[12:15]
	ds_write_b128 v16, v[108:111] offset:3840
	buffer_store_dword v197, off, s[40:43], 0 offset:696 ; 4-byte Folded Spill
	ds_write_b128 v197, v[8:11] offset:46080
	ds_write_b128 v197, v[112:115] offset:49920
	v_mad_legacy_u16 v8, v190, s11, v191
	s_movk_i32 s11, 0x1000
	v_add_f64 v[118:119], v[4:5], -v[158:159]
	v_add_f64 v[120:121], v[6:7], -v[160:161]
	;; [unrolled: 1-line block ×4, first 2 shown]
	v_add_co_u32_e32 v128, vcc, s11, v166
	v_fma_f64 v[4:5], v[4:5], 2.0, -v[118:119]
	v_fma_f64 v[6:7], v[6:7], 2.0, -v[120:121]
	;; [unrolled: 1-line block ×4, first 2 shown]
	v_lshlrev_b32_e32 v8, 4, v8
	v_addc_co_u32_e32 v129, vcc, 0, v167, vcc
	buffer_store_dword v8, off, s[40:43], 0 offset:692 ; 4-byte Folded Spill
	ds_write_b128 v8, v[4:7]
	ds_write_b128 v8, v[118:121] offset:3840
	buffer_store_dword v198, off, s[40:43], 0 offset:912 ; 4-byte Folded Spill
	ds_write_b128 v198, v[0:3] offset:53760
	ds_write_b128 v198, v[146:149] offset:57600
	s_waitcnt lgkmcnt(0)
	s_barrier
	ds_read_b128 v[56:59], v171
	ds_read_b128 v[116:119], v171 offset:30720
	ds_read_b128 v[52:55], v171 offset:2048
	;; [unrolled: 1-line block ×29, first 2 shown]
	global_load_dwordx4 v[130:133], v[128:129], off offset:3424
	s_waitcnt vmcnt(0) lgkmcnt(14)
	v_mul_f64 v[120:121], v[118:119], v[132:133]
	v_fma_f64 v[122:123], v[116:117], v[130:131], -v[120:121]
	v_mul_f64 v[120:121], v[116:117], v[132:133]
	v_accvgpr_write_b32 a128, v130
	v_fmac_f64_e32 v[120:121], v[118:119], v[130:131]
	v_accvgpr_write_b32 a129, v131
	v_accvgpr_write_b32 a130, v132
	;; [unrolled: 1-line block ×3, first 2 shown]
	v_add_co_u32_e32 v130, vcc, s36, v166
	v_addc_co_u32_e32 v131, vcc, 0, v167, vcc
	global_load_dwordx4 v[142:145], v[130:131], off offset:1376
	s_movk_i32 s36, 0xffa0
	s_waitcnt vmcnt(0)
	v_mul_f64 v[116:117], v[114:115], v[144:145]
	v_fma_f64 v[118:119], v[112:113], v[142:143], -v[116:117]
	v_mul_f64 v[116:117], v[112:113], v[144:145]
	v_accvgpr_write_b32 a124, v142
	v_fmac_f64_e32 v[116:117], v[114:115], v[142:143]
	v_accvgpr_write_b32 a125, v143
	v_accvgpr_write_b32 a126, v144
	v_accvgpr_write_b32 a127, v145
	global_load_dwordx4 v[142:145], v[130:131], off offset:3424
	s_waitcnt vmcnt(0)
	v_mul_f64 v[112:113], v[110:111], v[144:145]
	v_fma_f64 v[114:115], v[108:109], v[142:143], -v[112:113]
	v_mul_f64 v[112:113], v[108:109], v[144:145]
	v_add_co_u32_e32 v108, vcc, s36, v188
	v_addc_co_u32_e64 v109, s[36:37], 0, -1, vcc
	s_mov_b64 s[36:37], 0x1e0
	v_cmp_gt_u64_e32 vcc, s[36:37], v[126:127]
	v_cndmask_b32_e32 v108, v108, v126, vcc
	v_cndmask_b32_e64 v109, v109, 0, vcc
	v_fmac_f64_e32 v[112:113], v[110:111], v[142:143]
	v_lshlrev_b64 v[110:111], 4, v[108:109]
	v_add_co_u32_e32 v109, vcc, s10, v110
	v_addc_co_u32_e32 v111, vcc, v193, v111, vcc
	v_add_co_u32_e32 v110, vcc, s11, v109
	v_accvgpr_write_b32 a120, v142
	v_addc_co_u32_e32 v111, vcc, 0, v111, vcc
	v_accvgpr_write_b32 a121, v143
	v_accvgpr_write_b32 a122, v144
	;; [unrolled: 1-line block ×3, first 2 shown]
	global_load_dwordx4 v[142:145], v[110:111], off offset:3424
	v_lshrrev_b32_e32 v109, 19, v141
	s_mov_b64 s[36:37], 0x1df
	s_waitcnt vmcnt(0)
	v_mul_f64 v[110:111], v[106:107], v[144:145]
	v_fma_f64 v[110:111], v[104:105], v[142:143], -v[110:111]
	v_mul_f64 v[104:105], v[104:105], v[144:145]
	v_accvgpr_write_b32 a116, v142
	v_fmac_f64_e32 v[104:105], v[106:107], v[142:143]
	v_accvgpr_write_b32 a117, v143
	v_accvgpr_write_b32 a118, v144
	;; [unrolled: 1-line block ×3, first 2 shown]
	global_load_dwordx4 v[142:145], v[128:129], off offset:3936
	s_waitcnt vmcnt(0)
	v_mul_f64 v[106:107], v[102:103], v[144:145]
	v_fma_f64 v[106:107], v[100:101], v[142:143], -v[106:107]
	v_mul_f64 v[100:101], v[100:101], v[144:145]
	v_accvgpr_write_b32 a84, v142
	v_fmac_f64_e32 v[100:101], v[102:103], v[142:143]
	v_accvgpr_write_b32 a85, v143
	v_accvgpr_write_b32 a86, v144
	;; [unrolled: 1-line block ×3, first 2 shown]
	global_load_dwordx4 v[142:145], v[130:131], off offset:1888
	s_waitcnt vmcnt(0)
	v_mul_f64 v[102:103], v[98:99], v[144:145]
	global_load_dwordx4 v[128:131], v[130:131], off offset:3936
	v_fma_f64 v[102:103], v[96:97], v[142:143], -v[102:103]
	v_mul_f64 v[96:97], v[96:97], v[144:145]
	v_fmac_f64_e32 v[96:97], v[98:99], v[142:143]
	v_accvgpr_write_b32 a80, v142
	v_accvgpr_write_b32 a81, v143
	v_accvgpr_write_b32 a82, v144
	v_accvgpr_write_b32 a83, v145
	s_waitcnt vmcnt(0)
	v_mul_f64 v[98:99], v[94:95], v[130:131]
	v_fma_f64 v[98:99], v[92:93], v[128:129], -v[98:99]
	v_mul_f64 v[92:93], v[92:93], v[130:131]
	v_fmac_f64_e32 v[92:93], v[94:95], v[128:129]
	v_accvgpr_write_b32 a68, v128
	v_mul_lo_u16_e32 v94, 0x1e0, v109
	v_accvgpr_write_b32 a69, v129
	v_accvgpr_write_b32 a70, v130
	;; [unrolled: 1-line block ×3, first 2 shown]
	v_sub_u16_e32 v128, v124, v94
	v_lshlrev_b32_e32 v94, 4, v128
	v_add_co_u32_e32 v94, vcc, s10, v94
	v_addc_co_u32_e32 v95, vcc, 0, v193, vcc
	v_add_co_u32_e32 v94, vcc, s11, v94
	v_addc_co_u32_e32 v95, vcc, 0, v95, vcc
	global_load_dwordx4 v[130:133], v[94:95], off offset:3424
	v_lshrrev_b32_e32 v129, 20, v137
	s_waitcnt vmcnt(0)
	v_mul_f64 v[94:95], v[90:91], v[132:133]
	v_fma_f64 v[94:95], v[88:89], v[130:131], -v[94:95]
	v_mul_f64 v[88:89], v[88:89], v[132:133]
	v_fmac_f64_e32 v[88:89], v[90:91], v[130:131]
	v_lshrrev_b32_e32 v90, 20, v140
	v_mul_lo_u16_e32 v90, 0x1e0, v90
	v_accvgpr_write_b32 a56, v130
	v_sub_u16_e32 v90, v180, v90
	v_accvgpr_write_b32 a57, v131
	v_accvgpr_write_b32 a58, v132
	v_accvgpr_write_b32 a59, v133
	v_lshlrev_b32_e32 v133, 4, v90
	v_add_co_u32_e32 v90, vcc, s10, v133
	v_addc_co_u32_e32 v91, vcc, 0, v193, vcc
	v_add_co_u32_e32 v90, vcc, s11, v90
	v_addc_co_u32_e32 v91, vcc, 0, v91, vcc
	global_load_dwordx4 v[140:143], v[90:91], off offset:3424
	v_accvgpr_write_b32 a255, v133
	s_waitcnt vmcnt(0) lgkmcnt(12)
	v_mul_f64 v[90:91], v[86:87], v[142:143]
	v_fma_f64 v[90:91], v[84:85], v[140:141], -v[90:91]
	v_mul_f64 v[84:85], v[84:85], v[142:143]
	v_fmac_f64_e32 v[84:85], v[86:87], v[140:141]
	v_lshrrev_b32_e32 v86, 20, v139
	v_mul_lo_u16_e32 v86, 0x1e0, v86
	v_sub_u16_e32 v86, v175, v86
	v_lshlrev_b32_e32 v148, 4, v86
	v_add_co_u32_e32 v86, vcc, s10, v148
	v_addc_co_u32_e32 v87, vcc, 0, v193, vcc
	v_add_co_u32_e32 v86, vcc, s11, v86
	v_accvgpr_write_b32 a52, v140
	v_addc_co_u32_e32 v87, vcc, 0, v87, vcc
	v_accvgpr_write_b32 a53, v141
	v_accvgpr_write_b32 a54, v142
	;; [unrolled: 1-line block ×3, first 2 shown]
	global_load_dwordx4 v[140:143], v[86:87], off offset:3424
	s_waitcnt vmcnt(0) lgkmcnt(10)
	v_mul_f64 v[86:87], v[82:83], v[142:143]
	v_fma_f64 v[86:87], v[80:81], v[140:141], -v[86:87]
	v_mul_f64 v[80:81], v[80:81], v[142:143]
	v_fmac_f64_e32 v[80:81], v[82:83], v[140:141]
	v_lshrrev_b32_e32 v82, 20, v138
	v_mul_lo_u16_e32 v82, 0x1e0, v82
	v_sub_u16_e32 v82, v176, v82
	v_lshlrev_b32_e32 v149, 4, v82
	v_add_co_u32_e32 v82, vcc, s10, v149
	v_addc_co_u32_e32 v83, vcc, 0, v193, vcc
	v_add_co_u32_e32 v82, vcc, s11, v82
	v_accvgpr_write_b32 a14, v140
	v_addc_co_u32_e32 v83, vcc, 0, v83, vcc
	v_accvgpr_write_b32 a15, v141
	v_accvgpr_write_b32 a16, v142
	;; [unrolled: 1-line block ×3, first 2 shown]
	global_load_dwordx4 v[138:141], v[82:83], off offset:3424
	v_add_f64 v[80:81], v[22:23], -v[80:81]
	v_fma_f64 v[22:23], v[22:23], 2.0, -v[80:81]
	s_waitcnt vmcnt(0) lgkmcnt(8)
	v_mul_f64 v[82:83], v[78:79], v[140:141]
	v_fma_f64 v[82:83], v[76:77], v[138:139], -v[82:83]
	v_mul_f64 v[76:77], v[76:77], v[140:141]
	v_fmac_f64_e32 v[76:77], v[78:79], v[138:139]
	v_mul_lo_u16_e32 v78, 0x1e0, v129
	v_sub_u16_e32 v132, v179, v78
	v_lshlrev_b32_e32 v78, 4, v132
	v_add_co_u32_e32 v78, vcc, s10, v78
	v_addc_co_u32_e32 v79, vcc, 0, v193, vcc
	v_add_co_u32_e32 v78, vcc, s11, v78
	v_accvgpr_write_b32 a10, v138
	v_addc_co_u32_e32 v79, vcc, 0, v79, vcc
	v_accvgpr_write_b32 a11, v139
	v_accvgpr_write_b32 a12, v140
	;; [unrolled: 1-line block ×3, first 2 shown]
	global_load_dwordx4 v[140:143], v[78:79], off offset:3424
	v_add_f64 v[82:83], v[16:17], -v[82:83]
	v_fma_f64 v[16:17], v[16:17], 2.0, -v[82:83]
	s_waitcnt vmcnt(0) lgkmcnt(6)
	v_mul_f64 v[78:79], v[74:75], v[142:143]
	v_fma_f64 v[130:131], v[72:73], v[140:141], -v[78:79]
	v_mul_f64 v[138:139], v[72:73], v[142:143]
	v_lshrrev_b32_e32 v72, 20, v136
	v_mul_lo_u16_e32 v72, 0x1e0, v72
	v_sub_u16_e32 v72, v174, v72
	v_lshlrev_b32_e32 v150, 4, v72
	v_add_co_u32_e32 v72, vcc, s10, v150
	v_addc_co_u32_e32 v73, vcc, 0, v193, vcc
	v_add_co_u32_e32 v72, vcc, s11, v72
	v_accvgpr_write_b32 a6, v140
	v_addc_co_u32_e32 v73, vcc, 0, v73, vcc
	v_accvgpr_write_b32 a7, v141
	v_accvgpr_write_b32 a8, v142
	;; [unrolled: 1-line block ×3, first 2 shown]
	global_load_dwordx4 v[142:145], v[72:73], off offset:3424
	v_fmac_f64_e32 v[138:139], v[74:75], v[140:141]
	v_add_f64 v[74:75], v[46:47], -v[104:105]
	v_add_f64 v[104:105], v[40:41], -v[106:107]
	;; [unrolled: 1-line block ×6, first 2 shown]
	v_fma_f64 v[46:47], v[46:47], 2.0, -v[74:75]
	v_fma_f64 v[40:41], v[40:41], 2.0, -v[104:105]
	;; [unrolled: 1-line block ×3, first 2 shown]
	v_add_f64 v[98:99], v[34:35], -v[92:93]
	v_fma_f64 v[32:33], v[32:33], 2.0, -v[96:97]
	v_fma_f64 v[36:37], v[36:37], 2.0, -v[100:101]
	;; [unrolled: 1-line block ×4, first 2 shown]
	v_add_f64 v[92:93], v[28:29], -v[94:95]
	v_add_f64 v[94:95], v[30:31], -v[88:89]
	;; [unrolled: 1-line block ×6, first 2 shown]
	v_fma_f64 v[28:29], v[28:29], 2.0, -v[92:93]
	v_fma_f64 v[30:31], v[30:31], 2.0, -v[94:95]
	;; [unrolled: 1-line block ×6, first 2 shown]
	s_waitcnt vmcnt(0) lgkmcnt(4)
	v_mul_f64 v[72:73], v[70:71], v[144:145]
	v_fma_f64 v[136:137], v[68:69], v[142:143], -v[72:73]
	v_mul_f64 v[140:141], v[68:69], v[144:145]
	v_lshrrev_b32_e32 v68, 20, v135
	v_mul_lo_u16_e32 v68, 0x1e0, v68
	v_sub_u16_e32 v68, v177, v68
	v_lshlrev_b32_e32 v151, 4, v68
	v_add_co_u32_e32 v68, vcc, s10, v151
	v_addc_co_u32_e32 v69, vcc, 0, v193, vcc
	v_add_co_u32_e32 v68, vcc, s11, v68
	v_addc_co_u32_e32 v69, vcc, 0, v69, vcc
	global_load_dwordx4 v[250:253], v[68:69], off offset:3424
	v_accvgpr_write_b32 a2, v142
	v_fmac_f64_e32 v[140:141], v[70:71], v[142:143]
	v_accvgpr_write_b32 a3, v143
	v_accvgpr_write_b32 a4, v144
	v_accvgpr_write_b32 a5, v145
	v_add_f64 v[70:71], v[50:51], -v[112:113]
	v_fma_f64 v[50:51], v[50:51], 2.0, -v[70:71]
	v_add_f64 v[72:73], v[44:45], -v[110:111]
	v_fma_f64 v[44:45], v[44:45], 2.0, -v[72:73]
	v_add_f64 v[110:111], v[12:13], -v[130:131]
	v_add_f64 v[112:113], v[14:15], -v[138:139]
	v_fma_f64 v[12:13], v[12:13], 2.0, -v[110:111]
	v_fma_f64 v[14:15], v[14:15], 2.0, -v[112:113]
	s_waitcnt vmcnt(0) lgkmcnt(2)
	v_mul_f64 v[68:69], v[66:67], v[252:253]
	v_fma_f64 v[142:143], v[64:65], v[250:251], -v[68:69]
	v_mul_f64 v[144:145], v[64:65], v[252:253]
	v_lshrrev_b32_e32 v64, 20, v134
	v_mul_lo_u16_e32 v64, 0x1e0, v64
	v_sub_u16_e32 v64, v178, v64
	v_lshlrev_b32_e32 v152, 4, v64
	v_add_co_u32_e32 v64, vcc, s10, v152
	v_addc_co_u32_e32 v65, vcc, 0, v193, vcc
	v_add_co_u32_e32 v64, vcc, s11, v64
	v_addc_co_u32_e32 v65, vcc, 0, v65, vcc
	global_load_dwordx4 v[246:249], v[64:65], off offset:3424
	v_add_f64 v[68:69], v[48:49], -v[114:115]
	v_fmac_f64_e32 v[144:145], v[66:67], v[250:251]
	v_add_f64 v[66:67], v[54:55], -v[116:117]
	v_fma_f64 v[48:49], v[48:49], 2.0, -v[68:69]
	v_fma_f64 v[54:55], v[54:55], 2.0, -v[66:67]
	s_waitcnt lgkmcnt(0)
	s_barrier
	v_cmp_lt_u64_e32 vcc, s[36:37], v[126:127]
	s_movk_i32 s11, 0x3c0
	v_add_f64 v[114:115], v[8:9], -v[136:137]
	v_add_f64 v[116:117], v[10:11], -v[140:141]
	v_fma_f64 v[8:9], v[8:9], 2.0, -v[114:115]
	v_fma_f64 v[10:11], v[10:11], 2.0, -v[116:117]
	s_movk_i32 s36, 0x4000
	s_waitcnt vmcnt(0)
	v_mul_f64 v[64:65], v[62:63], v[248:249]
	v_mul_f64 v[146:147], v[60:61], v[248:249]
	v_fma_f64 v[134:135], v[60:61], v[246:247], -v[64:65]
	v_fmac_f64_e32 v[146:147], v[62:63], v[246:247]
	v_add_f64 v[60:61], v[56:57], -v[122:123]
	v_add_f64 v[62:63], v[58:59], -v[120:121]
	v_fma_f64 v[56:57], v[56:57], 2.0, -v[60:61]
	v_fma_f64 v[58:59], v[58:59], 2.0, -v[62:63]
	v_add_f64 v[64:65], v[52:53], -v[118:119]
	v_fma_f64 v[52:53], v[52:53], 2.0, -v[64:65]
	ds_write_b128 v171, v[56:59]
	ds_write_b128 v171, v[60:63] offset:7680
	ds_write_b128 v171, v[52:55] offset:2048
	;; [unrolled: 1-line block ×5, first 2 shown]
	v_mov_b32_e32 v48, 0x3c0
	v_cndmask_b32_e32 v48, 0, v48, vcc
	v_add_lshl_u32 v48, v48, v108, 4
	ds_write_b128 v48, v[44:47]
	ds_write_b128 v48, v[72:75] offset:7680
	ds_write_b128 v171, v[40:43] offset:15872
	;; [unrolled: 1-line block ×7, first 2 shown]
	v_mad_legacy_u16 v32, v109, s11, v128
	v_lshlrev_b32_e32 v32, 4, v32
	v_add_f64 v[118:119], v[4:5], -v[142:143]
	v_add_f64 v[120:121], v[6:7], -v[144:145]
	;; [unrolled: 1-line block ×4, first 2 shown]
	ds_write_b128 v32, v[28:31]
	ds_write_b128 v32, v[92:95] offset:7680
	ds_write_b128 v133, v[24:27] offset:30720
	;; [unrolled: 1-line block ×3, first 2 shown]
	buffer_store_dword v148, off, s[40:43], 0 offset:1184 ; 4-byte Folded Spill
	ds_write_b128 v148, v[20:23] offset:30720
	ds_write_b128 v148, v[78:81] offset:38400
	buffer_store_dword v149, off, s[40:43], 0 offset:1164 ; 4-byte Folded Spill
	ds_write_b128 v149, v[16:19] offset:30720
	ds_write_b128 v149, v[82:85] offset:38400
	v_mad_legacy_u16 v16, v129, s11, v132
	v_fma_f64 v[4:5], v[4:5], 2.0, -v[118:119]
	v_fma_f64 v[6:7], v[6:7], 2.0, -v[120:121]
	v_fma_f64 v[0:1], v[0:1], 2.0, -v[134:135]
	v_fma_f64 v[2:3], v[2:3], 2.0, -v[136:137]
	v_lshlrev_b32_e32 v16, 4, v16
	s_movk_i32 s11, 0x3000
	buffer_store_dword v16, off, s[40:43], 0 offset:1144 ; 4-byte Folded Spill
	ds_write_b128 v16, v[12:15]
	ds_write_b128 v16, v[110:113] offset:7680
	buffer_store_dword v150, off, s[40:43], 0 offset:1124 ; 4-byte Folded Spill
	ds_write_b128 v150, v[8:11] offset:46080
	ds_write_b128 v150, v[114:117] offset:53760
	buffer_store_dword v151, off, s[40:43], 0 offset:1112 ; 4-byte Folded Spill
	ds_write_b128 v151, v[4:7] offset:46080
	ds_write_b128 v151, v[118:121] offset:53760
	buffer_store_dword v152, off, s[40:43], 0 offset:1120 ; 4-byte Folded Spill
	ds_write_b128 v152, v[0:3] offset:46080
	ds_write_b128 v152, v[134:137] offset:53760
	v_add_co_u32_e32 v134, vcc, s11, v166
	v_addc_co_u32_e32 v135, vcc, 0, v167, vcc
	v_accvgpr_write_b32 a141, v48
	v_accvgpr_write_b32 a254, v32
	s_waitcnt lgkmcnt(0)
	s_barrier
	ds_read_b128 v[56:59], v171
	ds_read_b128 v[116:119], v171 offset:30720
	ds_read_b128 v[52:55], v171 offset:2048
	;; [unrolled: 1-line block ×29, first 2 shown]
	global_load_dwordx4 v[126:129], v[134:135], off offset:2912
	v_add_co_u32_e32 v130, vcc, s36, v166
	v_addc_co_u32_e32 v131, vcc, 0, v167, vcc
	global_load_dwordx4 v[234:237], v[130:131], off offset:3936
	s_movk_i32 s36, 0x5000
	global_load_dwordx4 v[242:245], v[134:135], off offset:3936
	global_load_dwordx4 v[238:241], v[130:131], off offset:1888
	s_waitcnt vmcnt(3) lgkmcnt(14)
	v_mul_f64 v[120:121], v[118:119], v[128:129]
	v_fma_f64 v[122:123], v[116:117], v[126:127], -v[120:121]
	v_mul_f64 v[120:121], v[116:117], v[128:129]
	v_accvgpr_write_b32 a48, v126
	v_fmac_f64_e32 v[120:121], v[118:119], v[126:127]
	v_accvgpr_write_b32 a49, v127
	v_accvgpr_write_b32 a50, v128
	;; [unrolled: 1-line block ×3, first 2 shown]
	global_load_dwordx4 v[126:129], v[130:131], off offset:864
	s_waitcnt vmcnt(0)
	v_mul_f64 v[116:117], v[114:115], v[128:129]
	v_fma_f64 v[118:119], v[112:113], v[126:127], -v[116:117]
	v_mul_f64 v[116:117], v[112:113], v[128:129]
	v_accvgpr_write_b32 a40, v126
	v_fmac_f64_e32 v[116:117], v[114:115], v[126:127]
	v_accvgpr_write_b32 a41, v127
	v_accvgpr_write_b32 a42, v128
	;; [unrolled: 1-line block ×3, first 2 shown]
	global_load_dwordx4 v[126:129], v[130:131], off offset:2912
	v_add_f64 v[118:119], v[52:53], -v[118:119]
	v_fma_f64 v[52:53], v[52:53], 2.0, -v[118:119]
	s_waitcnt vmcnt(0)
	v_mul_f64 v[112:113], v[110:111], v[128:129]
	v_accvgpr_write_b32 a44, v126
	v_fma_f64 v[114:115], v[108:109], v[126:127], -v[112:113]
	v_mul_f64 v[112:113], v[108:109], v[128:129]
	v_accvgpr_write_b32 a45, v127
	v_accvgpr_write_b32 a46, v128
	;; [unrolled: 1-line block ×3, first 2 shown]
	v_add_co_u32_e32 v128, vcc, s36, v166
	v_addc_co_u32_e32 v129, vcc, 0, v167, vcc
	global_load_dwordx4 v[226:229], v[128:129], off offset:3936
	global_load_dwordx4 v[136:139], v[128:129], off offset:864
	global_load_dwordx4 v[230:233], v[128:129], off offset:1888
	v_fmac_f64_e32 v[112:113], v[110:111], v[126:127]
	s_movk_i32 s36, 0x6000
	v_add_co_u32_e32 v126, vcc, s36, v166
	v_addc_co_u32_e32 v127, vcc, 0, v167, vcc
	s_movk_i32 s36, 0xffc0
	global_load_dwordx4 v[222:225], v[126:127], off offset:1888
	global_load_dwordx4 v[218:221], v[126:127], off offset:3936
	v_add_f64 v[114:115], v[48:49], -v[114:115]
	v_fma_f64 v[48:49], v[48:49], 2.0, -v[114:115]
	s_waitcnt vmcnt(3)
	v_mul_f64 v[108:109], v[106:107], v[138:139]
	v_fma_f64 v[110:111], v[104:105], v[136:137], -v[108:109]
	v_mul_f64 v[108:109], v[104:105], v[138:139]
	v_accvgpr_write_b32 a32, v136
	v_fmac_f64_e32 v[108:109], v[106:107], v[136:137]
	v_accvgpr_write_b32 a33, v137
	v_accvgpr_write_b32 a34, v138
	;; [unrolled: 1-line block ×3, first 2 shown]
	global_load_dwordx4 v[136:139], v[128:129], off offset:2912
	v_add_f64 v[110:111], v[44:45], -v[110:111]
	s_waitcnt vmcnt(1) lgkmcnt(0)
	v_mul_f64 v[128:129], v[60:61], v[220:221]
	v_fmac_f64_e32 v[128:129], v[62:63], v[218:219]
	v_fma_f64 v[44:45], v[44:45], 2.0, -v[110:111]
	v_add_f64 v[128:129], v[2:3], -v[128:129]
	v_fma_f64 v[2:3], v[2:3], 2.0, -v[128:129]
	s_waitcnt vmcnt(0)
	v_mul_f64 v[104:105], v[102:103], v[138:139]
	v_fma_f64 v[106:107], v[100:101], v[136:137], -v[104:105]
	v_mul_f64 v[104:105], v[100:101], v[138:139]
	v_accvgpr_write_b32 a36, v136
	v_fmac_f64_e32 v[104:105], v[102:103], v[136:137]
	v_accvgpr_write_b32 a37, v137
	v_accvgpr_write_b32 a38, v138
	;; [unrolled: 1-line block ×3, first 2 shown]
	global_load_dwordx4 v[136:139], v[126:127], off offset:864
	v_add_f64 v[106:107], v[40:41], -v[106:107]
	v_fma_f64 v[40:41], v[40:41], 2.0, -v[106:107]
	s_waitcnt vmcnt(0)
	v_mul_f64 v[100:101], v[98:99], v[138:139]
	v_fma_f64 v[102:103], v[96:97], v[136:137], -v[100:101]
	v_mul_f64 v[100:101], v[96:97], v[138:139]
	v_accvgpr_write_b32 a24, v136
	v_fmac_f64_e32 v[100:101], v[98:99], v[136:137]
	v_accvgpr_write_b32 a25, v137
	v_accvgpr_write_b32 a26, v138
	;; [unrolled: 1-line block ×3, first 2 shown]
	global_load_dwordx4 v[136:139], v[126:127], off offset:2912
	v_add_f64 v[102:103], v[36:37], -v[102:103]
	v_fma_f64 v[36:37], v[36:37], 2.0, -v[102:103]
	s_waitcnt vmcnt(0)
	v_mul_f64 v[96:97], v[94:95], v[138:139]
	v_fma_f64 v[98:99], v[92:93], v[136:137], -v[96:97]
	v_mul_f64 v[96:97], v[92:93], v[138:139]
	v_add_co_u32_e32 v92, vcc, s36, v188
	v_addc_co_u32_e64 v93, s[36:37], 0, -1, vcc
	s_mov_b64 s[36:37], 0x3c0
	v_cmp_gt_u64_e32 vcc, s[36:37], v[124:125]
	v_cndmask_b32_e32 v92, v92, v124, vcc
	v_cndmask_b32_e64 v93, v93, 0, vcc
	v_fmac_f64_e32 v[96:97], v[94:95], v[136:137]
	v_lshlrev_b64 v[94:95], 4, v[92:93]
	v_add_co_u32_e32 v93, vcc, s10, v94
	v_addc_co_u32_e32 v95, vcc, v193, v95, vcc
	v_add_co_u32_e32 v94, vcc, s11, v93
	v_accvgpr_write_b32 a28, v136
	v_addc_co_u32_e32 v95, vcc, 0, v95, vcc
	v_accvgpr_write_b32 a29, v137
	v_accvgpr_write_b32 a30, v138
	;; [unrolled: 1-line block ×3, first 2 shown]
	global_load_dwordx4 v[136:139], v[94:95], off offset:2912
	v_add_f64 v[98:99], v[32:33], -v[98:99]
	v_fma_f64 v[32:33], v[32:33], 2.0, -v[98:99]
	s_mov_b64 s[10:11], 0x3bf
	s_barrier
	v_cmp_lt_u64_e32 vcc, s[10:11], v[124:125]
	s_movk_i32 s10, 0x7000
	s_waitcnt vmcnt(0)
	v_mul_f64 v[94:95], v[90:91], v[138:139]
	v_fma_f64 v[94:95], v[88:89], v[136:137], -v[94:95]
	v_mul_f64 v[88:89], v[88:89], v[138:139]
	v_fmac_f64_e32 v[88:89], v[90:91], v[136:137]
	v_mul_f64 v[90:91], v[86:87], v[244:245]
	v_fma_f64 v[90:91], v[84:85], v[242:243], -v[90:91]
	v_mul_f64 v[84:85], v[84:85], v[244:245]
	v_fmac_f64_e32 v[84:85], v[86:87], v[242:243]
	;; [unrolled: 4-line block ×7, first 2 shown]
	v_mul_f64 v[66:67], v[62:63], v[220:221]
	v_fma_f64 v[126:127], v[60:61], v[218:219], -v[66:67]
	v_add_f64 v[60:61], v[56:57], -v[122:123]
	v_add_f64 v[62:63], v[58:59], -v[120:121]
	v_fma_f64 v[56:57], v[56:57], 2.0, -v[60:61]
	v_fma_f64 v[58:59], v[58:59], 2.0, -v[62:63]
	v_add_f64 v[120:121], v[54:55], -v[116:117]
	v_add_f64 v[116:117], v[50:51], -v[112:113]
	;; [unrolled: 1-line block ×6, first 2 shown]
	v_fma_f64 v[54:55], v[54:55], 2.0, -v[120:121]
	v_fma_f64 v[50:51], v[50:51], 2.0, -v[116:117]
	;; [unrolled: 1-line block ×6, first 2 shown]
	ds_write_b128 v171, v[56:59]
	ds_write_b128 v171, v[60:63] offset:15360
	ds_write_b128 v171, v[52:55] offset:2048
	;; [unrolled: 1-line block ×13, first 2 shown]
	v_mov_b32_e32 v32, 0x780
	v_add_f64 v[94:95], v[28:29], -v[94:95]
	v_add_f64 v[96:97], v[30:31], -v[88:89]
	;; [unrolled: 1-line block ×14, first 2 shown]
	v_cndmask_b32_e32 v32, 0, v32, vcc
	v_add_co_u32_e32 v122, vcc, s10, v166
	v_fma_f64 v[28:29], v[28:29], 2.0, -v[94:95]
	v_fma_f64 v[30:31], v[30:31], 2.0, -v[96:97]
	;; [unrolled: 1-line block ×14, first 2 shown]
	v_add_f64 v[126:127], v[0:1], -v[126:127]
	v_add_lshl_u32 v32, v32, v92, 4
	v_addc_co_u32_e32 v123, vcc, 0, v167, vcc
	v_fma_f64 v[0:1], v[0:1], 2.0, -v[126:127]
	ds_write_b128 v32, v[28:31]
	ds_write_b128 v32, v[94:97] offset:15360
	v_accvgpr_write_b32 a140, v32
	ds_write_b128 v171, v[24:27] offset:31744
	ds_write_b128 v171, v[88:91] offset:47104
	;; [unrolled: 1-line block ×14, first 2 shown]
	s_waitcnt lgkmcnt(0)
	s_barrier
	ds_read_b128 v[56:59], v171
	ds_read_b128 v[116:119], v171 offset:30720
	ds_read_b128 v[52:55], v171 offset:2048
	;; [unrolled: 1-line block ×29, first 2 shown]
	global_load_dwordx4 v[214:217], v[122:123], off offset:1888
	global_load_dwordx4 v[210:213], v[122:123], off offset:3936
	v_add_co_u32_e32 v122, vcc, s33, v166
	v_addc_co_u32_e32 v123, vcc, 0, v167, vcc
	global_load_dwordx4 v[202:205], v[122:123], off offset:3936
	global_load_dwordx4 v[206:209], v[122:123], off offset:1888
	v_add_co_u32_e32 v122, vcc, s29, v166
	v_addc_co_u32_e32 v123, vcc, 0, v167, vcc
	;; [unrolled: 4-line block ×4, first 2 shown]
	global_load_dwordx4 v[174:177], v[122:123], off offset:1888
	global_load_dwordx4 v[160:163], v[122:123], off offset:3936
	v_accvgpr_write_b32 a18, v136
	v_accvgpr_write_b32 a19, v137
	;; [unrolled: 1-line block ×4, first 2 shown]
	s_waitcnt vmcnt(9) lgkmcnt(14)
	v_mul_f64 v[120:121], v[118:119], v[216:217]
	v_fma_f64 v[138:139], v[116:117], v[214:215], -v[120:121]
	v_mul_f64 v[116:117], v[116:117], v[216:217]
	v_fmac_f64_e32 v[116:117], v[118:119], v[214:215]
	s_waitcnt vmcnt(8)
	v_mul_f64 v[118:119], v[114:115], v[212:213]
	v_fma_f64 v[118:119], v[112:113], v[210:211], -v[118:119]
	v_mul_f64 v[112:113], v[112:113], v[212:213]
	v_fmac_f64_e32 v[112:113], v[114:115], v[210:211]
	s_waitcnt vmcnt(6)
	v_mul_f64 v[114:115], v[110:111], v[208:209]
	v_fma_f64 v[120:121], v[108:109], v[206:207], -v[114:115]
	v_mul_f64 v[108:109], v[108:109], v[208:209]
	v_fmac_f64_e32 v[108:109], v[110:111], v[206:207]
	v_mul_f64 v[110:111], v[106:107], v[204:205]
	v_fma_f64 v[110:111], v[104:105], v[202:203], -v[110:111]
	v_mul_f64 v[104:105], v[104:105], v[204:205]
	v_fmac_f64_e32 v[104:105], v[106:107], v[202:203]
	s_waitcnt vmcnt(5)
	v_mul_f64 v[106:107], v[102:103], v[200:201]
	v_fma_f64 v[114:115], v[100:101], v[198:199], -v[106:107]
	v_mul_f64 v[100:101], v[100:101], v[200:201]
	v_fmac_f64_e32 v[100:101], v[102:103], v[198:199]
	s_waitcnt vmcnt(4)
	;; [unrolled: 5-line block ×3, first 2 shown]
	v_mul_f64 v[98:99], v[94:95], v[192:193]
	v_fma_f64 v[98:99], v[92:93], v[190:191], -v[98:99]
	v_mul_f64 v[92:93], v[92:93], v[192:193]
	v_fmac_f64_e32 v[92:93], v[94:95], v[190:191]
	v_mul_f64 v[94:95], v[90:91], v[180:181]
	v_fma_f64 v[102:103], v[88:89], v[178:179], -v[94:95]
	v_mul_f64 v[88:89], v[88:89], v[180:181]
	v_fmac_f64_e32 v[88:89], v[90:91], v[178:179]
	s_waitcnt vmcnt(1) lgkmcnt(12)
	v_mul_f64 v[90:91], v[86:87], v[176:177]
	v_fma_f64 v[90:91], v[84:85], v[174:175], -v[90:91]
	v_mul_f64 v[84:85], v[84:85], v[176:177]
	v_fmac_f64_e32 v[84:85], v[86:87], v[174:175]
	s_waitcnt vmcnt(0) lgkmcnt(10)
	v_mul_f64 v[86:87], v[82:83], v[162:163]
	v_fma_f64 v[122:123], v[80:81], v[160:161], -v[86:87]
	v_mul_f64 v[124:125], v[80:81], v[162:163]
	v_add_co_u32_e32 v80, vcc, s28, v166
	v_addc_co_u32_e32 v81, vcc, 0, v167, vcc
	global_load_dwordx4 v[156:159], v[80:81], off offset:1888
	global_load_dwordx4 v[152:155], v[80:81], off offset:3936
	v_fmac_f64_e32 v[124:125], v[82:83], v[160:161]
	v_add_f64 v[86:87], v[28:29], -v[102:103]
	v_add_f64 v[88:89], v[30:31], -v[88:89]
	;; [unrolled: 1-line block ×4, first 2 shown]
	v_fma_f64 v[28:29], v[28:29], 2.0, -v[86:87]
	v_fma_f64 v[30:31], v[30:31], 2.0, -v[88:89]
	;; [unrolled: 1-line block ×4, first 2 shown]
	s_waitcnt vmcnt(1) lgkmcnt(8)
	v_mul_f64 v[82:83], v[78:79], v[158:159]
	v_fma_f64 v[126:127], v[76:77], v[156:157], -v[82:83]
	v_mul_f64 v[128:129], v[76:77], v[158:159]
	s_waitcnt vmcnt(0) lgkmcnt(6)
	v_mul_f64 v[76:77], v[74:75], v[154:155]
	v_fma_f64 v[94:95], v[72:73], v[152:153], -v[76:77]
	v_mul_f64 v[134:135], v[72:73], v[154:155]
	v_add_co_u32_e32 v72, vcc, s34, v166
	v_addc_co_u32_e32 v73, vcc, 0, v167, vcc
	global_load_dwordx4 v[144:147], v[72:73], off offset:3936
	global_load_dwordx4 v[148:151], v[72:73], off offset:1888
	v_fmac_f64_e32 v[134:135], v[74:75], v[152:153]
	v_fmac_f64_e32 v[128:129], v[78:79], v[156:157]
	v_add_f64 v[78:79], v[42:43], -v[100:101]
	v_add_f64 v[100:101], v[20:21], -v[122:123]
	;; [unrolled: 1-line block ×9, first 2 shown]
	v_fma_f64 v[40:41], v[40:41], 2.0, -v[76:77]
	v_fma_f64 v[42:43], v[42:43], 2.0, -v[78:79]
	v_fma_f64 v[36:37], v[36:37], 2.0, -v[80:81]
	v_fma_f64 v[38:39], v[38:39], 2.0, -v[82:83]
	v_fma_f64 v[32:33], v[32:33], 2.0, -v[96:97]
	v_fma_f64 v[34:35], v[34:35], 2.0, -v[98:99]
	v_fma_f64 v[26:27], v[26:27], 2.0, -v[92:93]
	v_fma_f64 v[20:21], v[20:21], 2.0, -v[100:101]
	v_fma_f64 v[18:19], v[18:19], 2.0, -v[106:107]
	s_waitcnt vmcnt(1) lgkmcnt(2)
	v_mul_f64 v[0:1], v[64:65], v[146:147]
	s_waitcnt vmcnt(0)
	v_mul_f64 v[74:75], v[70:71], v[150:151]
	v_fma_f64 v[136:137], v[68:69], v[148:149], -v[74:75]
	v_mul_f64 v[2:3], v[68:69], v[150:151]
	v_mul_f64 v[68:69], v[66:67], v[146:147]
	v_fma_f64 v[168:169], v[64:65], v[144:145], -v[68:69]
	v_add_co_u32_e32 v64, vcc, s30, v166
	v_addc_co_u32_e32 v65, vcc, 0, v167, vcc
	global_load_dwordx4 v[140:143], v[64:65], off offset:1888
	v_fmac_f64_e32 v[0:1], v[66:67], v[144:145]
	v_fmac_f64_e32 v[2:3], v[70:71], v[148:149]
	v_add_f64 v[68:69], v[48:49], -v[120:121]
	v_add_f64 v[66:67], v[54:55], -v[112:113]
	;; [unrolled: 1-line block ×10, first 2 shown]
	v_fma_f64 v[54:55], v[54:55], 2.0, -v[66:67]
	v_fma_f64 v[48:49], v[48:49], 2.0, -v[68:69]
	;; [unrolled: 1-line block ×10, first 2 shown]
	s_waitcnt vmcnt(0) lgkmcnt(0)
	v_mul_f64 v[64:65], v[62:63], v[142:143]
	v_mul_f64 v[166:167], v[60:61], v[142:143]
	v_fma_f64 v[164:165], v[60:61], v[140:141], -v[64:65]
	v_fmac_f64_e32 v[166:167], v[62:63], v[140:141]
	v_add_f64 v[60:61], v[56:57], -v[138:139]
	v_add_f64 v[62:63], v[58:59], -v[116:117]
	;; [unrolled: 1-line block ×7, first 2 shown]
	v_fma_f64 v[56:57], v[56:57], 2.0, -v[60:61]
	v_fma_f64 v[58:59], v[58:59], 2.0, -v[62:63]
	;; [unrolled: 1-line block ×7, first 2 shown]
	ds_write_b128 v171, v[56:59]
	ds_write_b128 v171, v[60:63] offset:30720
	ds_write_b128 v171, v[52:55] offset:2048
	;; [unrolled: 1-line block ×29, first 2 shown]
	s_waitcnt lgkmcnt(0)
	s_barrier
	ds_read_b128 v[0:3], v171
	global_load_dwordx4 v[4:7], v171, s[16:17]
	s_waitcnt vmcnt(0) lgkmcnt(0)
	v_mul_f64 v[8:9], v[2:3], v[6:7]
	v_mul_f64 v[10:11], v[0:1], v[6:7]
	v_fma_f64 v[8:9], v[0:1], v[4:5], -v[8:9]
	v_fmac_f64_e32 v[10:11], v[2:3], v[4:5]
	buffer_load_dword v4, off, s[40:43], 0 offset:4 ; 4-byte Folded Reload
	ds_read_b128 v[0:3], v171 offset:6144
	ds_write_b128 v171, v[8:11]
	s_waitcnt vmcnt(0)
	global_load_dwordx4 v[4:7], v4, s[16:17]
	s_waitcnt vmcnt(0) lgkmcnt(1)
	v_mul_f64 v[8:9], v[2:3], v[6:7]
	v_mul_f64 v[10:11], v[0:1], v[6:7]
	v_fma_f64 v[8:9], v[0:1], v[4:5], -v[8:9]
	v_fmac_f64_e32 v[10:11], v[2:3], v[4:5]
	buffer_load_dword v4, off, s[40:43], 0  ; 4-byte Folded Reload
	ds_read_b128 v[0:3], v171 offset:12288
	ds_write_b128 v171, v[8:11] offset:6144
	s_waitcnt vmcnt(0)
	global_load_dwordx4 v[4:7], v4, s[16:17]
	s_waitcnt vmcnt(0) lgkmcnt(1)
	v_mul_f64 v[8:9], v[2:3], v[6:7]
	v_mul_f64 v[10:11], v[0:1], v[6:7]
	v_fma_f64 v[8:9], v[0:1], v[4:5], -v[8:9]
	v_fmac_f64_e32 v[10:11], v[2:3], v[4:5]
	buffer_load_dword v4, off, s[40:43], 0 offset:48 ; 4-byte Folded Reload
	ds_read_b128 v[0:3], v171 offset:18432
	ds_write_b128 v171, v[8:11] offset:12288
	s_waitcnt vmcnt(0)
	global_load_dwordx4 v[4:7], v4, s[16:17]
	s_waitcnt vmcnt(0) lgkmcnt(1)
	v_mul_f64 v[8:9], v[2:3], v[6:7]
	v_mul_f64 v[10:11], v[0:1], v[6:7]
	v_fma_f64 v[8:9], v[0:1], v[4:5], -v[8:9]
	v_fmac_f64_e32 v[10:11], v[2:3], v[4:5]
	buffer_load_dword v4, off, s[40:43], 0 offset:24 ; 4-byte Folded Reload
	ds_read_b128 v[0:3], v171 offset:24576
	ds_write_b128 v171, v[8:11] offset:18432
	s_waitcnt vmcnt(0)
	global_load_dwordx4 v[4:7], v4, s[16:17]
	s_waitcnt vmcnt(0) lgkmcnt(1)
	v_mul_f64 v[8:9], v[2:3], v[6:7]
	v_mul_f64 v[10:11], v[0:1], v[6:7]
	v_fma_f64 v[8:9], v[0:1], v[4:5], -v[8:9]
	v_fmac_f64_e32 v[10:11], v[2:3], v[4:5]
	v_or_b32_e32 v4, 0x7800, v171
	global_load_dwordx4 v[4:7], v4, s[16:17]
	ds_read_b128 v[0:3], v171 offset:30720
	ds_write_b128 v171, v[8:11] offset:24576
	s_waitcnt vmcnt(0) lgkmcnt(1)
	v_mul_f64 v[8:9], v[2:3], v[6:7]
	v_mul_f64 v[10:11], v[0:1], v[6:7]
	v_fma_f64 v[8:9], v[0:1], v[4:5], -v[8:9]
	v_fmac_f64_e32 v[10:11], v[2:3], v[4:5]
	v_or_b32_e32 v4, 0x9000, v171
	global_load_dwordx4 v[4:7], v4, s[16:17]
	ds_read_b128 v[0:3], v171 offset:36864
	ds_write_b128 v171, v[8:11] offset:30720
	;; [unrolled: 9-line block ×4, first 2 shown]
	s_waitcnt vmcnt(0) lgkmcnt(1)
	v_mul_f64 v[8:9], v[2:3], v[6:7]
	v_mul_f64 v[10:11], v[0:1], v[6:7]
	v_fma_f64 v[8:9], v[0:1], v[4:5], -v[8:9]
	v_fmac_f64_e32 v[10:11], v[2:3], v[4:5]
	global_load_dwordx4 v[4:7], v187, s[16:17]
	ds_read_b128 v[0:3], v171 offset:55296
	ds_write_b128 v171, v[8:11] offset:49152
	s_waitcnt vmcnt(0) lgkmcnt(1)
	v_mul_f64 v[8:9], v[2:3], v[6:7]
	v_mul_f64 v[10:11], v[0:1], v[6:7]
	v_fma_f64 v[8:9], v[0:1], v[4:5], -v[8:9]
	v_fmac_f64_e32 v[10:11], v[2:3], v[4:5]
	ds_read_b128 v[0:3], v171 offset:2048
	global_load_dwordx4 v[4:7], v171, s[16:17] offset:2048
	ds_write_b128 v171, v[8:11] offset:55296
	s_waitcnt vmcnt(0) lgkmcnt(1)
	v_mul_f64 v[8:9], v[2:3], v[6:7]
	v_mul_f64 v[10:11], v[0:1], v[6:7]
	v_fma_f64 v[8:9], v[0:1], v[4:5], -v[8:9]
	v_fmac_f64_e32 v[10:11], v[2:3], v[4:5]
	buffer_load_dword v4, off, s[40:43], 0 offset:8 ; 4-byte Folded Reload
	ds_read_b128 v[0:3], v171 offset:8192
	ds_write_b128 v171, v[8:11] offset:2048
	s_waitcnt vmcnt(0)
	global_load_dwordx4 v[4:7], v4, s[16:17]
	s_waitcnt vmcnt(0) lgkmcnt(1)
	v_mul_f64 v[8:9], v[2:3], v[6:7]
	v_mul_f64 v[10:11], v[0:1], v[6:7]
	v_fma_f64 v[8:9], v[0:1], v[4:5], -v[8:9]
	v_fmac_f64_e32 v[10:11], v[2:3], v[4:5]
	buffer_load_dword v4, off, s[40:43], 0 offset:44 ; 4-byte Folded Reload
	ds_read_b128 v[0:3], v171 offset:14336
	ds_write_b128 v171, v[8:11] offset:8192
	s_waitcnt vmcnt(0)
	global_load_dwordx4 v[4:7], v4, s[16:17]
	;; [unrolled: 10-line block ×3, first 2 shown]
	s_waitcnt vmcnt(0) lgkmcnt(1)
	v_mul_f64 v[8:9], v[2:3], v[6:7]
	v_mul_f64 v[10:11], v[0:1], v[6:7]
	v_fma_f64 v[8:9], v[0:1], v[4:5], -v[8:9]
	v_fmac_f64_e32 v[10:11], v[2:3], v[4:5]
	global_load_dwordx4 v[4:7], v189, s[16:17]
	ds_read_b128 v[0:3], v171 offset:26624
	ds_write_b128 v171, v[8:11] offset:20480
	s_waitcnt vmcnt(0) lgkmcnt(1)
	v_mul_f64 v[8:9], v[2:3], v[6:7]
	v_mul_f64 v[10:11], v[0:1], v[6:7]
	v_fma_f64 v[8:9], v[0:1], v[4:5], -v[8:9]
	v_fmac_f64_e32 v[10:11], v[2:3], v[4:5]
	global_load_dwordx4 v[4:7], v186, s[16:17]
	ds_read_b128 v[0:3], v171 offset:32768
	ds_write_b128 v171, v[8:11] offset:26624
	;; [unrolled: 8-line block ×6, first 2 shown]
	s_waitcnt vmcnt(0) lgkmcnt(1)
	v_mul_f64 v[8:9], v[2:3], v[6:7]
	v_mul_f64 v[10:11], v[0:1], v[6:7]
	v_fma_f64 v[8:9], v[0:1], v[4:5], -v[8:9]
	v_fmac_f64_e32 v[10:11], v[2:3], v[4:5]
	buffer_load_dword v4, off, s[40:43], 0 offset:68 ; 4-byte Folded Reload
	ds_read_b128 v[0:3], v171 offset:4096
	ds_write_b128 v171, v[8:11] offset:57344
	s_waitcnt vmcnt(0)
	global_load_dwordx4 v[4:7], v4, s[16:17]
	s_waitcnt vmcnt(0) lgkmcnt(1)
	v_mul_f64 v[8:9], v[2:3], v[6:7]
	v_mul_f64 v[10:11], v[0:1], v[6:7]
	v_fma_f64 v[8:9], v[0:1], v[4:5], -v[8:9]
	v_fmac_f64_e32 v[10:11], v[2:3], v[4:5]
	buffer_load_dword v4, off, s[40:43], 0 offset:108 ; 4-byte Folded Reload
	ds_read_b128 v[0:3], v171 offset:10240
	ds_write_b128 v171, v[8:11] offset:4096
	s_waitcnt vmcnt(0)
	global_load_dwordx4 v[4:7], v4, s[16:17]
	;; [unrolled: 10-line block ×5, first 2 shown]
	s_waitcnt vmcnt(0) lgkmcnt(1)
	v_mul_f64 v[8:9], v[2:3], v[6:7]
	v_mul_f64 v[10:11], v[0:1], v[6:7]
	v_fma_f64 v[8:9], v[0:1], v[4:5], -v[8:9]
	v_fmac_f64_e32 v[10:11], v[2:3], v[4:5]
	v_or_b32_e32 v4, 0x8800, v171
	global_load_dwordx4 v[4:7], v4, s[16:17]
	ds_read_b128 v[0:3], v171 offset:34816
	ds_write_b128 v171, v[8:11] offset:28672
	s_waitcnt vmcnt(0) lgkmcnt(1)
	v_mul_f64 v[8:9], v[2:3], v[6:7]
	v_mul_f64 v[10:11], v[0:1], v[6:7]
	v_fma_f64 v[8:9], v[0:1], v[4:5], -v[8:9]
	v_fmac_f64_e32 v[10:11], v[2:3], v[4:5]
	v_or_b32_e32 v4, 0xa000, v171
	global_load_dwordx4 v[4:7], v4, s[16:17]
	ds_read_b128 v[0:3], v171 offset:40960
	ds_write_b128 v171, v[8:11] offset:34816
	;; [unrolled: 9-line block ×5, first 2 shown]
	s_waitcnt vmcnt(0) lgkmcnt(1)
	v_mul_f64 v[8:9], v[2:3], v[6:7]
	v_mul_f64 v[10:11], v[0:1], v[6:7]
	v_fma_f64 v[8:9], v[0:1], v[4:5], -v[8:9]
	v_fmac_f64_e32 v[10:11], v[2:3], v[4:5]
	ds_write_b128 v171, v[8:11] offset:59392
	s_waitcnt lgkmcnt(0)
	s_barrier
	ds_read_b128 v[64:67], v171
	ds_read_b128 v[84:87], v171 offset:6144
	ds_read_b128 v[114:117], v171 offset:12288
	ds_read_b128 v[88:91], v171 offset:18432
	ds_read_b128 v[118:121], v171 offset:24576
	ds_read_b128 v[92:95], v171 offset:30720
	ds_read_b128 v[122:125], v171 offset:36864
	ds_read_b128 v[96:99], v171 offset:43008
	ds_read_b128 v[126:129], v171 offset:49152
	ds_read_b128 v[100:103], v171 offset:55296
	ds_read_b128 v[4:7], v171 offset:2048
	ds_read_b128 v[0:3], v171 offset:8192
	ds_read_b128 v[68:71], v171 offset:14336
	ds_read_b128 v[34:37], v171 offset:20480
	ds_read_b128 v[72:75], v171 offset:26624
	ds_read_b128 v[108:111], v171 offset:32768
	ds_read_b128 v[76:79], v171 offset:38912
	ds_read_b128 v[26:29], v171 offset:45056
	ds_read_b128 v[18:21], v171 offset:51200
	ds_read_b128 v[22:25], v171 offset:57344
	s_waitcnt lgkmcnt(14)
	v_add_f64 v[16:17], v[64:65], v[114:115]
	v_add_f64 v[16:17], v[16:17], v[118:119]
	s_waitcnt lgkmcnt(13)
	v_add_f64 v[16:17], v[16:17], v[122:123]
	s_waitcnt lgkmcnt(11)
	v_add_f64 v[32:33], v[16:17], v[126:127]
	v_add_f64 v[16:17], v[118:119], v[122:123]
	v_fma_f64 v[188:189], -0.5, v[16:17], v[64:65]
	v_add_f64 v[16:17], v[116:117], -v[128:129]
	v_fma_f64 v[186:187], s[8:9], v[16:17], v[188:189]
	v_add_f64 v[30:31], v[120:121], -v[124:125]
	v_add_f64 v[38:39], v[114:115], -v[118:119]
	;; [unrolled: 1-line block ×3, first 2 shown]
	v_fmac_f64_e32 v[188:189], s[4:5], v[16:17]
	v_fmac_f64_e32 v[186:187], s[14:15], v[30:31]
	v_add_f64 v[38:39], v[38:39], v[112:113]
	v_fmac_f64_e32 v[188:189], s[2:3], v[30:31]
	v_fmac_f64_e32 v[186:187], s[6:7], v[38:39]
	;; [unrolled: 1-line block ×3, first 2 shown]
	v_add_f64 v[38:39], v[114:115], v[126:127]
	v_fmac_f64_e32 v[64:65], -0.5, v[38:39]
	v_fma_f64 v[184:185], s[4:5], v[30:31], v[64:65]
	v_fmac_f64_e32 v[64:65], s[8:9], v[30:31]
	v_fmac_f64_e32 v[184:185], s[14:15], v[16:17]
	;; [unrolled: 1-line block ×3, first 2 shown]
	v_add_f64 v[16:17], v[66:67], v[116:117]
	v_add_f64 v[16:17], v[16:17], v[120:121]
	v_add_f64 v[38:39], v[118:119], -v[114:115]
	v_add_f64 v[112:113], v[122:123], -v[126:127]
	v_add_f64 v[16:17], v[16:17], v[124:125]
	v_add_f64 v[38:39], v[38:39], v[112:113]
	;; [unrolled: 1-line block ×4, first 2 shown]
	v_fma_f64 v[16:17], -0.5, v[16:17], v[66:67]
	v_add_f64 v[114:115], v[114:115], -v[126:127]
	v_fmac_f64_e32 v[184:185], s[6:7], v[38:39]
	v_fmac_f64_e32 v[64:65], s[6:7], v[38:39]
	v_fma_f64 v[38:39], s[4:5], v[114:115], v[16:17]
	v_add_f64 v[118:119], v[118:119], -v[122:123]
	v_add_f64 v[30:31], v[116:117], -v[120:121]
	;; [unrolled: 1-line block ×3, first 2 shown]
	v_fmac_f64_e32 v[16:17], s[8:9], v[114:115]
	v_fmac_f64_e32 v[38:39], s[2:3], v[118:119]
	v_add_f64 v[30:31], v[30:31], v[122:123]
	v_fmac_f64_e32 v[16:17], s[14:15], v[118:119]
	v_fmac_f64_e32 v[38:39], s[6:7], v[30:31]
	;; [unrolled: 1-line block ×3, first 2 shown]
	v_add_f64 v[30:31], v[116:117], v[128:129]
	v_fmac_f64_e32 v[66:67], -0.5, v[30:31]
	v_fma_f64 v[30:31], s[8:9], v[118:119], v[66:67]
	v_fmac_f64_e32 v[66:67], s[4:5], v[118:119]
	v_fmac_f64_e32 v[30:31], s[2:3], v[114:115]
	;; [unrolled: 1-line block ×3, first 2 shown]
	v_add_f64 v[114:115], v[84:85], v[88:89]
	v_add_f64 v[114:115], v[114:115], v[92:93]
	v_add_f64 v[116:117], v[120:121], -v[116:117]
	v_add_f64 v[120:121], v[124:125], -v[128:129]
	v_add_f64 v[114:115], v[114:115], v[96:97]
	v_add_f64 v[116:117], v[116:117], v[120:121]
	s_waitcnt lgkmcnt(10)
	v_add_f64 v[182:183], v[114:115], v[100:101]
	v_add_f64 v[114:115], v[92:93], v[96:97]
	v_fmac_f64_e32 v[30:31], s[6:7], v[116:117]
	v_fmac_f64_e32 v[66:67], s[6:7], v[116:117]
	v_fma_f64 v[114:115], -0.5, v[114:115], v[84:85]
	v_add_f64 v[116:117], v[90:91], -v[102:103]
	v_fma_f64 v[120:121], s[8:9], v[116:117], v[114:115]
	v_add_f64 v[118:119], v[94:95], -v[98:99]
	v_add_f64 v[122:123], v[88:89], -v[92:93]
	;; [unrolled: 1-line block ×3, first 2 shown]
	v_fmac_f64_e32 v[114:115], s[4:5], v[116:117]
	v_fmac_f64_e32 v[120:121], s[14:15], v[118:119]
	v_add_f64 v[122:123], v[122:123], v[124:125]
	v_fmac_f64_e32 v[114:115], s[2:3], v[118:119]
	v_fmac_f64_e32 v[120:121], s[6:7], v[122:123]
	;; [unrolled: 1-line block ×3, first 2 shown]
	v_add_f64 v[122:123], v[88:89], v[100:101]
	v_fmac_f64_e32 v[84:85], -0.5, v[122:123]
	v_fma_f64 v[124:125], s[4:5], v[118:119], v[84:85]
	v_fmac_f64_e32 v[84:85], s[8:9], v[118:119]
	v_add_f64 v[118:119], v[94:95], v[98:99]
	v_add_f64 v[122:123], v[92:93], -v[88:89]
	v_fma_f64 v[138:139], -0.5, v[118:119], v[86:87]
	v_add_f64 v[88:89], v[88:89], -v[100:101]
	v_add_f64 v[126:127], v[96:97], -v[100:101]
	v_fma_f64 v[100:101], s[4:5], v[88:89], v[138:139]
	v_add_f64 v[92:93], v[92:93], -v[96:97]
	v_add_f64 v[96:97], v[90:91], -v[94:95]
	;; [unrolled: 1-line block ×3, first 2 shown]
	v_fmac_f64_e32 v[138:139], s[8:9], v[88:89]
	v_fmac_f64_e32 v[100:101], s[2:3], v[92:93]
	v_add_f64 v[96:97], v[96:97], v[118:119]
	v_fmac_f64_e32 v[138:139], s[14:15], v[92:93]
	v_fmac_f64_e32 v[100:101], s[6:7], v[96:97]
	v_fmac_f64_e32 v[138:139], s[6:7], v[96:97]
	v_add_f64 v[96:97], v[90:91], v[102:103]
	v_fmac_f64_e32 v[124:125], s[14:15], v[116:117]
	v_fmac_f64_e32 v[84:85], s[2:3], v[116:117]
	v_add_f64 v[116:117], v[86:87], v[90:91]
	v_fmac_f64_e32 v[86:87], -0.5, v[96:97]
	v_add_f64 v[116:117], v[116:117], v[94:95]
	v_fma_f64 v[96:97], s[8:9], v[92:93], v[86:87]
	v_add_f64 v[90:91], v[94:95], -v[90:91]
	v_add_f64 v[94:95], v[98:99], -v[102:103]
	v_fmac_f64_e32 v[96:97], s[2:3], v[88:89]
	v_add_f64 v[90:91], v[90:91], v[94:95]
	v_add_f64 v[122:123], v[122:123], v[126:127]
	v_fmac_f64_e32 v[96:97], s[6:7], v[90:91]
	v_fmac_f64_e32 v[86:87], s[4:5], v[92:93]
	;; [unrolled: 1-line block ×3, first 2 shown]
	v_add_f64 v[116:117], v[116:117], v[98:99]
	v_fmac_f64_e32 v[86:87], s[14:15], v[88:89]
	v_mul_f64 v[164:165], v[96:97], s[6:7]
	v_add_f64 v[116:117], v[116:117], v[102:103]
	v_fmac_f64_e32 v[86:87], s[6:7], v[90:91]
	v_fmac_f64_e32 v[164:165], s[4:5], v[124:125]
	;; [unrolled: 1-line block ×3, first 2 shown]
	v_mul_f64 v[88:89], v[100:101], s[14:15]
	v_mul_f64 v[90:91], v[96:97], s[8:9]
	;; [unrolled: 1-line block ×3, first 2 shown]
	v_add_f64 v[128:129], v[112:113], v[116:117]
	v_mul_f64 v[102:103], v[120:121], s[2:3]
	v_add_f64 v[136:137], v[30:31], v[164:165]
	v_mul_f64 v[86:87], v[86:87], s[20:21]
	v_add_f64 v[98:99], v[112:113], -v[116:117]
	v_add_f64 v[116:117], v[30:31], -v[164:165]
	s_waitcnt lgkmcnt(3)
	v_add_f64 v[30:31], v[72:73], v[76:77]
	v_add_f64 v[126:127], v[32:33], v[182:183]
	v_fmac_f64_e32 v[88:89], s[22:23], v[120:121]
	v_fmac_f64_e32 v[90:91], s[6:7], v[124:125]
	;; [unrolled: 1-line block ×3, first 2 shown]
	v_mul_f64 v[94:95], v[138:139], s[14:15]
	v_fmac_f64_e32 v[102:103], s[22:23], v[100:101]
	v_fmac_f64_e32 v[86:87], s[4:5], v[84:85]
	v_mul_f64 v[84:85], v[138:139], s[18:19]
	v_add_f64 v[96:97], v[32:33], -v[182:183]
	v_fma_f64 v[32:33], -0.5, v[30:31], v[4:5]
	s_waitcnt lgkmcnt(1)
	v_add_f64 v[30:31], v[70:71], -v[20:21]
	v_add_f64 v[130:131], v[186:187], v[88:89]
	v_add_f64 v[134:135], v[184:185], v[90:91]
	;; [unrolled: 1-line block ×3, first 2 shown]
	v_fmac_f64_e32 v[94:95], s[18:19], v[114:115]
	v_add_f64 v[132:133], v[38:39], v[102:103]
	v_add_f64 v[120:121], v[66:67], v[86:87]
	v_fmac_f64_e32 v[84:85], s[2:3], v[114:115]
	v_add_f64 v[100:101], v[186:187], -v[88:89]
	v_add_f64 v[114:115], v[184:185], -v[90:91]
	;; [unrolled: 1-line block ×5, first 2 shown]
	v_fma_f64 v[182:183], s[8:9], v[30:31], v[32:33]
	v_add_f64 v[38:39], v[74:75], -v[78:79]
	v_add_f64 v[64:65], v[68:69], -v[72:73]
	v_add_f64 v[66:67], v[18:19], -v[76:77]
	v_fmac_f64_e32 v[32:33], s[4:5], v[30:31]
	v_fmac_f64_e32 v[182:183], s[14:15], v[38:39]
	v_add_f64 v[64:65], v[64:65], v[66:67]
	v_fmac_f64_e32 v[32:33], s[2:3], v[38:39]
	v_fmac_f64_e32 v[182:183], s[6:7], v[64:65]
	;; [unrolled: 1-line block ×3, first 2 shown]
	v_add_f64 v[64:65], v[68:69], v[18:19]
	v_add_f64 v[122:123], v[188:189], v[94:95]
	;; [unrolled: 1-line block ×3, first 2 shown]
	v_add_f64 v[92:93], v[188:189], -v[94:95]
	v_add_f64 v[94:95], v[16:17], -v[84:85]
	v_add_f64 v[16:17], v[4:5], v[68:69]
	v_fmac_f64_e32 v[4:5], -0.5, v[64:65]
	v_fma_f64 v[186:187], s[4:5], v[38:39], v[4:5]
	v_fmac_f64_e32 v[4:5], s[8:9], v[38:39]
	v_fmac_f64_e32 v[186:187], s[14:15], v[30:31]
	;; [unrolled: 1-line block ×3, first 2 shown]
	v_add_f64 v[30:31], v[6:7], v[70:71]
	v_add_f64 v[30:31], v[30:31], v[74:75]
	;; [unrolled: 1-line block ×5, first 2 shown]
	v_add_f64 v[64:65], v[72:73], -v[68:69]
	v_add_f64 v[66:67], v[76:77], -v[18:19]
	v_add_f64 v[112:113], v[30:31], v[20:21]
	v_add_f64 v[30:31], v[74:75], v[78:79]
	;; [unrolled: 1-line block ×4, first 2 shown]
	v_fma_f64 v[38:39], -0.5, v[30:31], v[6:7]
	v_add_f64 v[18:19], v[68:69], -v[18:19]
	v_fmac_f64_e32 v[186:187], s[6:7], v[64:65]
	v_fmac_f64_e32 v[4:5], s[6:7], v[64:65]
	v_fma_f64 v[184:185], s[4:5], v[18:19], v[38:39]
	v_add_f64 v[30:31], v[72:73], -v[76:77]
	v_add_f64 v[64:65], v[70:71], -v[74:75]
	;; [unrolled: 1-line block ×3, first 2 shown]
	v_fmac_f64_e32 v[38:39], s[8:9], v[18:19]
	v_fmac_f64_e32 v[184:185], s[2:3], v[30:31]
	v_add_f64 v[64:65], v[64:65], v[66:67]
	v_fmac_f64_e32 v[38:39], s[14:15], v[30:31]
	v_fmac_f64_e32 v[184:185], s[6:7], v[64:65]
	;; [unrolled: 1-line block ×3, first 2 shown]
	v_add_f64 v[64:65], v[70:71], v[20:21]
	v_fmac_f64_e32 v[6:7], -0.5, v[64:65]
	v_fma_f64 v[188:189], s[8:9], v[30:31], v[6:7]
	v_add_f64 v[64:65], v[74:75], -v[70:71]
	v_add_f64 v[20:21], v[78:79], -v[20:21]
	v_fmac_f64_e32 v[6:7], s[4:5], v[30:31]
	v_fmac_f64_e32 v[188:189], s[2:3], v[18:19]
	v_add_f64 v[20:21], v[64:65], v[20:21]
	v_fmac_f64_e32 v[6:7], s[14:15], v[18:19]
	v_fmac_f64_e32 v[188:189], s[6:7], v[20:21]
	v_fmac_f64_e32 v[6:7], s[6:7], v[20:21]
	v_add_f64 v[20:21], v[108:109], v[26:27]
	v_fma_f64 v[20:21], -0.5, v[20:21], v[0:1]
	s_waitcnt lgkmcnt(0)
	v_add_f64 v[30:31], v[36:37], -v[24:25]
	v_fma_f64 v[66:67], s[8:9], v[30:31], v[20:21]
	v_add_f64 v[64:65], v[110:111], -v[28:29]
	v_add_f64 v[68:69], v[34:35], -v[108:109]
	;; [unrolled: 1-line block ×3, first 2 shown]
	v_fmac_f64_e32 v[20:21], s[4:5], v[30:31]
	v_fmac_f64_e32 v[66:67], s[14:15], v[64:65]
	v_add_f64 v[68:69], v[68:69], v[70:71]
	v_fmac_f64_e32 v[20:21], s[2:3], v[64:65]
	v_add_f64 v[18:19], v[0:1], v[34:35]
	v_fmac_f64_e32 v[66:67], s[6:7], v[68:69]
	v_fmac_f64_e32 v[20:21], s[6:7], v[68:69]
	v_add_f64 v[68:69], v[34:35], v[22:23]
	v_add_f64 v[18:19], v[18:19], v[108:109]
	v_fmac_f64_e32 v[0:1], -0.5, v[68:69]
	v_add_f64 v[18:19], v[18:19], v[26:27]
	v_fma_f64 v[70:71], s[4:5], v[64:65], v[0:1]
	v_add_f64 v[68:69], v[108:109], -v[34:35]
	v_add_f64 v[72:73], v[26:27], -v[22:23]
	v_fmac_f64_e32 v[0:1], s[8:9], v[64:65]
	v_add_f64 v[64:65], v[110:111], v[28:29]
	v_add_f64 v[18:19], v[18:19], v[22:23]
	v_fmac_f64_e32 v[70:71], s[14:15], v[30:31]
	v_add_f64 v[68:69], v[68:69], v[72:73]
	v_fmac_f64_e32 v[0:1], s[2:3], v[30:31]
	v_fma_f64 v[138:139], -0.5, v[64:65], v[2:3]
	v_add_f64 v[22:23], v[34:35], -v[22:23]
	v_fmac_f64_e32 v[70:71], s[6:7], v[68:69]
	v_fmac_f64_e32 v[0:1], s[6:7], v[68:69]
	v_fma_f64 v[34:35], s[4:5], v[22:23], v[138:139]
	v_add_f64 v[26:27], v[108:109], -v[26:27]
	v_add_f64 v[64:65], v[36:37], -v[110:111]
	;; [unrolled: 1-line block ×3, first 2 shown]
	v_fmac_f64_e32 v[138:139], s[8:9], v[22:23]
	v_add_f64 v[30:31], v[2:3], v[36:37]
	v_fmac_f64_e32 v[34:35], s[2:3], v[26:27]
	v_add_f64 v[64:65], v[64:65], v[68:69]
	;; [unrolled: 2-line block ×3, first 2 shown]
	v_fmac_f64_e32 v[34:35], s[6:7], v[64:65]
	v_fmac_f64_e32 v[138:139], s[6:7], v[64:65]
	v_add_f64 v[64:65], v[36:37], v[24:25]
	v_add_f64 v[30:31], v[30:31], v[28:29]
	v_fmac_f64_e32 v[2:3], -0.5, v[64:65]
	v_add_f64 v[30:31], v[30:31], v[24:25]
	v_fma_f64 v[86:87], s[8:9], v[26:27], v[2:3]
	v_add_f64 v[36:37], v[110:111], -v[36:37]
	v_add_f64 v[24:25], v[28:29], -v[24:25]
	v_fmac_f64_e32 v[2:3], s[4:5], v[26:27]
	v_add_f64 v[24:25], v[36:37], v[24:25]
	v_fmac_f64_e32 v[2:3], s[14:15], v[22:23]
	v_fmac_f64_e32 v[2:3], s[6:7], v[24:25]
	;; [unrolled: 1-line block ×3, first 2 shown]
	v_mul_f64 v[36:37], v[2:3], s[8:9]
	v_mul_f64 v[164:165], v[2:3], s[20:21]
	v_fmac_f64_e32 v[86:87], s[6:7], v[24:25]
	v_fmac_f64_e32 v[36:37], s[20:21], v[0:1]
	v_mul_f64 v[110:111], v[66:67], s[2:3]
	v_fmac_f64_e32 v[164:165], s[4:5], v[0:1]
	v_mul_f64 v[0:1], v[138:139], s[18:19]
	ds_read_b128 v[12:15], v171 offset:4096
	ds_read_b128 v[8:11], v171 offset:10240
	;; [unrolled: 1-line block ×10, first 2 shown]
	v_mul_f64 v[22:23], v[34:35], s[14:15]
	v_mul_f64 v[26:27], v[86:87], s[8:9]
	;; [unrolled: 1-line block ×3, first 2 shown]
	v_fmac_f64_e32 v[110:111], s[22:23], v[34:35]
	v_mul_f64 v[34:35], v[86:87], s[6:7]
	v_fmac_f64_e32 v[0:1], s[2:3], v[20:21]
	v_add_f64 v[72:73], v[16:17], v[18:19]
	v_fmac_f64_e32 v[26:27], s[6:7], v[70:71]
	v_fmac_f64_e32 v[108:109], s[18:19], v[20:21]
	;; [unrolled: 1-line block ×3, first 2 shown]
	v_add_f64 v[70:71], v[38:39], v[0:1]
	v_add_f64 v[20:21], v[16:17], -v[18:19]
	v_add_f64 v[18:19], v[38:39], -v[0:1]
	s_waitcnt lgkmcnt(7)
	v_add_f64 v[0:1], v[12:13], v[52:53]
	s_waitcnt lgkmcnt(5)
	v_add_f64 v[0:1], v[0:1], v[48:49]
	v_fmac_f64_e32 v[22:23], s[22:23], v[66:67]
	s_waitcnt lgkmcnt(3)
	v_add_f64 v[0:1], v[0:1], v[44:45]
	v_add_f64 v[76:77], v[182:183], v[22:23]
	;; [unrolled: 1-line block ×3, first 2 shown]
	v_add_f64 v[24:25], v[182:183], -v[22:23]
	v_add_f64 v[22:23], v[112:113], -v[30:31]
	s_waitcnt lgkmcnt(1)
	v_add_f64 v[112:113], v[0:1], v[40:41]
	v_add_f64 v[0:1], v[48:49], v[44:45]
	;; [unrolled: 1-line block ×3, first 2 shown]
	v_add_f64 v[16:17], v[32:33], -v[108:109]
	v_fma_f64 v[108:109], -0.5, v[0:1], v[12:13]
	v_add_f64 v[0:1], v[54:55], -v[42:43]
	v_add_f64 v[84:85], v[186:187], v[26:27]
	v_add_f64 v[64:65], v[4:5], v[36:37]
	;; [unrolled: 1-line block ×5, first 2 shown]
	v_add_f64 v[28:29], v[186:187], -v[26:27]
	v_add_f64 v[2:3], v[4:5], -v[36:37]
	;; [unrolled: 1-line block ×5, first 2 shown]
	v_fma_f64 v[184:185], s[8:9], v[0:1], v[108:109]
	v_add_f64 v[6:7], v[50:51], -v[46:47]
	v_add_f64 v[32:33], v[52:53], -v[48:49]
	;; [unrolled: 1-line block ×3, first 2 shown]
	v_fmac_f64_e32 v[108:109], s[4:5], v[0:1]
	v_fmac_f64_e32 v[184:185], s[14:15], v[6:7]
	v_add_f64 v[32:33], v[32:33], v[34:35]
	v_fmac_f64_e32 v[108:109], s[2:3], v[6:7]
	v_fmac_f64_e32 v[184:185], s[6:7], v[32:33]
	;; [unrolled: 1-line block ×3, first 2 shown]
	v_add_f64 v[32:33], v[52:53], v[40:41]
	v_fmac_f64_e32 v[12:13], -0.5, v[32:33]
	v_fma_f64 v[188:189], s[4:5], v[6:7], v[12:13]
	v_fmac_f64_e32 v[12:13], s[8:9], v[6:7]
	v_fmac_f64_e32 v[188:189], s[14:15], v[0:1]
	;; [unrolled: 1-line block ×3, first 2 shown]
	v_add_f64 v[0:1], v[14:15], v[54:55]
	v_add_f64 v[0:1], v[0:1], v[50:51]
	;; [unrolled: 1-line block ×3, first 2 shown]
	v_add_f64 v[32:33], v[48:49], -v[52:53]
	v_add_f64 v[34:35], v[44:45], -v[40:41]
	v_add_f64 v[182:183], v[0:1], v[42:43]
	v_add_f64 v[0:1], v[50:51], v[46:47]
	;; [unrolled: 1-line block ×3, first 2 shown]
	v_fma_f64 v[110:111], -0.5, v[0:1], v[14:15]
	v_add_f64 v[6:7], v[52:53], -v[40:41]
	v_fmac_f64_e32 v[188:189], s[6:7], v[32:33]
	v_fmac_f64_e32 v[12:13], s[6:7], v[32:33]
	v_fma_f64 v[186:187], s[4:5], v[6:7], v[110:111]
	v_add_f64 v[32:33], v[48:49], -v[44:45]
	v_add_f64 v[0:1], v[54:55], -v[50:51]
	v_add_f64 v[34:35], v[42:43], -v[46:47]
	v_fmac_f64_e32 v[110:111], s[8:9], v[6:7]
	v_fmac_f64_e32 v[186:187], s[2:3], v[32:33]
	v_add_f64 v[0:1], v[0:1], v[34:35]
	v_fmac_f64_e32 v[110:111], s[14:15], v[32:33]
	v_fmac_f64_e32 v[186:187], s[6:7], v[0:1]
	;; [unrolled: 1-line block ×3, first 2 shown]
	v_add_f64 v[0:1], v[54:55], v[42:43]
	v_fmac_f64_e32 v[14:15], -0.5, v[0:1]
	v_fma_f64 v[0:1], s[8:9], v[32:33], v[14:15]
	v_add_f64 v[34:35], v[50:51], -v[54:55]
	v_add_f64 v[36:37], v[46:47], -v[42:43]
	v_fmac_f64_e32 v[14:15], s[4:5], v[32:33]
	v_add_f64 v[32:33], v[80:81], v[60:61]
	v_fmac_f64_e32 v[0:1], s[2:3], v[6:7]
	v_add_f64 v[34:35], v[34:35], v[36:37]
	v_fmac_f64_e32 v[14:15], s[14:15], v[6:7]
	v_fma_f64 v[46:47], -0.5, v[32:33], v[8:9]
	s_waitcnt lgkmcnt(0)
	v_add_f64 v[32:33], v[106:107], -v[58:59]
	v_fmac_f64_e32 v[0:1], s[6:7], v[34:35]
	v_fmac_f64_e32 v[14:15], s[6:7], v[34:35]
	v_fma_f64 v[34:35], s[8:9], v[32:33], v[46:47]
	v_add_f64 v[36:37], v[82:83], -v[62:63]
	v_add_f64 v[38:39], v[104:105], -v[80:81]
	;; [unrolled: 1-line block ×3, first 2 shown]
	v_fmac_f64_e32 v[46:47], s[4:5], v[32:33]
	v_fmac_f64_e32 v[34:35], s[14:15], v[36:37]
	v_add_f64 v[38:39], v[38:39], v[40:41]
	v_fmac_f64_e32 v[46:47], s[2:3], v[36:37]
	v_fmac_f64_e32 v[34:35], s[6:7], v[38:39]
	;; [unrolled: 1-line block ×3, first 2 shown]
	v_add_f64 v[38:39], v[104:105], v[56:57]
	v_add_f64 v[6:7], v[8:9], v[104:105]
	v_fmac_f64_e32 v[8:9], -0.5, v[38:39]
	v_fma_f64 v[50:51], s[4:5], v[36:37], v[8:9]
	v_fmac_f64_e32 v[8:9], s[8:9], v[36:37]
	v_fmac_f64_e32 v[50:51], s[14:15], v[32:33]
	;; [unrolled: 1-line block ×3, first 2 shown]
	v_add_f64 v[32:33], v[10:11], v[106:107]
	v_add_f64 v[32:33], v[32:33], v[82:83]
	;; [unrolled: 1-line block ×3, first 2 shown]
	v_add_f64 v[38:39], v[80:81], -v[104:105]
	v_add_f64 v[40:41], v[60:61], -v[56:57]
	v_add_f64 v[54:55], v[32:33], v[58:59]
	v_add_f64 v[32:33], v[82:83], v[62:63]
	;; [unrolled: 1-line block ×3, first 2 shown]
	v_fma_f64 v[52:53], -0.5, v[32:33], v[10:11]
	v_add_f64 v[32:33], v[104:105], -v[56:57]
	v_fmac_f64_e32 v[50:51], s[6:7], v[38:39]
	v_fmac_f64_e32 v[8:9], s[6:7], v[38:39]
	v_fma_f64 v[38:39], s[4:5], v[32:33], v[52:53]
	v_add_f64 v[36:37], v[80:81], -v[60:61]
	v_add_f64 v[40:41], v[106:107], -v[82:83]
	;; [unrolled: 1-line block ×3, first 2 shown]
	v_fmac_f64_e32 v[52:53], s[8:9], v[32:33]
	v_fmac_f64_e32 v[38:39], s[2:3], v[36:37]
	v_add_f64 v[40:41], v[40:41], v[42:43]
	v_fmac_f64_e32 v[52:53], s[14:15], v[36:37]
	v_add_f64 v[6:7], v[6:7], v[80:81]
	v_fmac_f64_e32 v[38:39], s[6:7], v[40:41]
	v_fmac_f64_e32 v[52:53], s[6:7], v[40:41]
	v_add_f64 v[40:41], v[106:107], v[58:59]
	v_add_f64 v[6:7], v[6:7], v[60:61]
	v_fmac_f64_e32 v[10:11], -0.5, v[40:41]
	v_add_f64 v[6:7], v[6:7], v[56:57]
	v_fma_f64 v[56:57], s[8:9], v[36:37], v[10:11]
	v_add_f64 v[40:41], v[82:83], -v[106:107]
	v_add_f64 v[42:43], v[62:63], -v[58:59]
	v_fmac_f64_e32 v[10:11], s[4:5], v[36:37]
	v_fmac_f64_e32 v[56:57], s[2:3], v[32:33]
	v_add_f64 v[40:41], v[40:41], v[42:43]
	v_fmac_f64_e32 v[10:11], s[14:15], v[32:33]
	v_fmac_f64_e32 v[56:57], s[6:7], v[40:41]
	;; [unrolled: 1-line block ×3, first 2 shown]
	v_mul_f64 v[58:59], v[38:39], s[14:15]
	v_mul_f64 v[60:61], v[56:57], s[8:9]
	;; [unrolled: 1-line block ×8, first 2 shown]
	v_fmac_f64_e32 v[58:59], s[22:23], v[34:35]
	v_fmac_f64_e32 v[60:61], s[6:7], v[50:51]
	;; [unrolled: 1-line block ×8, first 2 shown]
	v_add_f64 v[40:41], v[112:113], v[6:7]
	v_add_f64 v[36:37], v[184:185], v[58:59]
	;; [unrolled: 1-line block ×10, first 2 shown]
	v_add_f64 v[56:57], v[112:113], -v[6:7]
	v_add_f64 v[52:53], v[184:185], -v[58:59]
	v_add_f64 v[8:9], v[188:189], -v[60:61]
	v_add_f64 v[60:61], v[12:13], -v[62:63]
	v_add_f64 v[12:13], v[108:109], -v[80:81]
	v_add_f64 v[58:59], v[182:183], -v[54:55]
	v_add_f64 v[54:55], v[186:187], -v[82:83]
	v_add_f64 v[10:11], v[0:1], -v[104:105]
	v_add_f64 v[62:63], v[14:15], -v[106:107]
	v_add_f64 v[14:15], v[110:111], -v[138:139]
	s_barrier
	ds_write_b128 v172, v[126:129]
	ds_write_b128 v172, v[130:133] offset:16
	ds_write_b128 v172, v[134:137] offset:32
	ds_write_b128 v172, v[118:121] offset:48
	ds_write_b128 v172, v[122:125] offset:64
	ds_write_b128 v172, v[96:99] offset:80
	ds_write_b128 v172, v[100:103] offset:96
	ds_write_b128 v172, v[114:117] offset:112
	ds_write_b128 v172, v[88:91] offset:128
	ds_write_b128 v172, v[92:95] offset:144
	ds_write_b128 v173, v[72:75]
	ds_write_b128 v173, v[76:79] offset:16
	ds_write_b128 v173, v[84:87] offset:32
	ds_write_b128 v173, v[64:67] offset:48
	ds_write_b128 v173, v[68:71] offset:64
	ds_write_b128 v173, v[20:23] offset:80
	ds_write_b128 v173, v[24:27] offset:96
	ds_write_b128 v173, v[28:31] offset:112
	ds_write_b128 v173, v[2:5] offset:128
	ds_write_b128 v173, v[16:19] offset:144
	;; [unrolled: 10-line block ×3, first 2 shown]
	s_waitcnt lgkmcnt(0)
	s_barrier
	ds_read_b128 v[16:19], v171
	ds_read_b128 v[116:119], v171 offset:10240
	ds_read_b128 v[112:115], v171 offset:20480
	;; [unrolled: 1-line block ×29, first 2 shown]
	buffer_load_dword v120, off, s[40:43], 0 offset:668 ; 4-byte Folded Reload
	buffer_load_dword v121, off, s[40:43], 0 offset:672 ; 4-byte Folded Reload
	;; [unrolled: 1-line block ×4, first 2 shown]
	s_mov_b32 s2, 0x11111111
	s_mov_b32 s3, 0x3f311111
	s_waitcnt vmcnt(0) lgkmcnt(14)
	v_mul_f64 v[134:135], v[122:123], v[118:119]
	v_fmac_f64_e32 v[134:135], v[120:121], v[116:117]
	v_mul_f64 v[116:117], v[122:123], v[116:117]
	v_fma_f64 v[184:185], v[120:121], v[118:119], -v[116:117]
	buffer_load_dword v116, off, s[40:43], 0 offset:644 ; 4-byte Folded Reload
	buffer_load_dword v117, off, s[40:43], 0 offset:648 ; 4-byte Folded Reload
	buffer_load_dword v118, off, s[40:43], 0 offset:652 ; 4-byte Folded Reload
	buffer_load_dword v119, off, s[40:43], 0 offset:656 ; 4-byte Folded Reload
	s_waitcnt vmcnt(0)
	v_mul_f64 v[138:139], v[118:119], v[114:115]
	v_fmac_f64_e32 v[138:139], v[116:117], v[112:113]
	v_mul_f64 v[112:113], v[118:119], v[112:113]
	v_fma_f64 v[164:165], v[116:117], v[114:115], -v[112:113]
	buffer_load_dword v112, off, s[40:43], 0 offset:628 ; 4-byte Folded Reload
	buffer_load_dword v113, off, s[40:43], 0 offset:632 ; 4-byte Folded Reload
	buffer_load_dword v114, off, s[40:43], 0 offset:636 ; 4-byte Folded Reload
	buffer_load_dword v115, off, s[40:43], 0 offset:640 ; 4-byte Folded Reload
	s_waitcnt vmcnt(0)
	v_mul_f64 v[166:167], v[114:115], v[110:111]
	v_fmac_f64_e32 v[166:167], v[112:113], v[108:109]
	v_mul_f64 v[108:109], v[114:115], v[108:109]
	v_fma_f64 v[168:169], v[112:113], v[110:111], -v[108:109]
	buffer_load_dword v108, off, s[40:43], 0 offset:608 ; 4-byte Folded Reload
	buffer_load_dword v109, off, s[40:43], 0 offset:612 ; 4-byte Folded Reload
	buffer_load_dword v110, off, s[40:43], 0 offset:616 ; 4-byte Folded Reload
	buffer_load_dword v111, off, s[40:43], 0 offset:620 ; 4-byte Folded Reload
	s_waitcnt vmcnt(0)
	v_mul_f64 v[172:173], v[110:111], v[106:107]
	v_fmac_f64_e32 v[172:173], v[108:109], v[104:105]
	v_mul_f64 v[104:105], v[110:111], v[104:105]
	v_fma_f64 v[186:187], v[108:109], v[106:107], -v[104:105]
	buffer_load_dword v104, off, s[40:43], 0 offset:700 ; 4-byte Folded Reload
	buffer_load_dword v105, off, s[40:43], 0 offset:704 ; 4-byte Folded Reload
	buffer_load_dword v106, off, s[40:43], 0 offset:708 ; 4-byte Folded Reload
	buffer_load_dword v107, off, s[40:43], 0 offset:712 ; 4-byte Folded Reload
	s_waitcnt vmcnt(0)
	v_mul_f64 v[188:189], v[106:107], v[102:103]
	v_fmac_f64_e32 v[188:189], v[104:105], v[100:101]
	v_mul_f64 v[100:101], v[106:107], v[100:101]
	v_fma_f64 v[102:103], v[104:105], v[102:103], -v[100:101]
	buffer_load_dword v104, off, s[40:43], 0 offset:1084 ; 4-byte Folded Reload
	buffer_load_dword v105, off, s[40:43], 0 offset:1088 ; 4-byte Folded Reload
	buffer_load_dword v106, off, s[40:43], 0 offset:1092 ; 4-byte Folded Reload
	buffer_load_dword v107, off, s[40:43], 0 offset:1096 ; 4-byte Folded Reload
	s_waitcnt vmcnt(0)
	v_mul_f64 v[122:123], v[106:107], v[98:99]
	v_fmac_f64_e32 v[122:123], v[104:105], v[96:97]
	v_mul_f64 v[96:97], v[106:107], v[96:97]
	v_fma_f64 v[124:125], v[104:105], v[98:99], -v[96:97]
	buffer_load_dword v96, off, s[40:43], 0 offset:1044 ; 4-byte Folded Reload
	buffer_load_dword v97, off, s[40:43], 0 offset:1048 ; 4-byte Folded Reload
	buffer_load_dword v98, off, s[40:43], 0 offset:1052 ; 4-byte Folded Reload
	buffer_load_dword v99, off, s[40:43], 0 offset:1056 ; 4-byte Folded Reload
	s_waitcnt vmcnt(0)
	v_mul_f64 v[130:131], v[98:99], v[94:95]
	v_fmac_f64_e32 v[130:131], v[96:97], v[92:93]
	v_mul_f64 v[92:93], v[98:99], v[92:93]
	v_fma_f64 v[136:137], v[96:97], v[94:95], -v[92:93]
	buffer_load_dword v92, off, s[40:43], 0 offset:996 ; 4-byte Folded Reload
	buffer_load_dword v93, off, s[40:43], 0 offset:1000 ; 4-byte Folded Reload
	buffer_load_dword v94, off, s[40:43], 0 offset:1004 ; 4-byte Folded Reload
	buffer_load_dword v95, off, s[40:43], 0 offset:1008 ; 4-byte Folded Reload
	s_waitcnt vmcnt(0)
	v_mul_f64 v[126:127], v[94:95], v[90:91]
	v_fmac_f64_e32 v[126:127], v[92:93], v[88:89]
	v_mul_f64 v[88:89], v[94:95], v[88:89]
	v_fma_f64 v[128:129], v[92:93], v[90:91], -v[88:89]
	buffer_load_dword v88, off, s[40:43], 0 offset:924 ; 4-byte Folded Reload
	buffer_load_dword v89, off, s[40:43], 0 offset:928 ; 4-byte Folded Reload
	buffer_load_dword v90, off, s[40:43], 0 offset:932 ; 4-byte Folded Reload
	buffer_load_dword v91, off, s[40:43], 0 offset:936 ; 4-byte Folded Reload
	s_waitcnt vmcnt(0)
	v_mul_f64 v[108:109], v[90:91], v[86:87]
	v_fmac_f64_e32 v[108:109], v[88:89], v[84:85]
	v_mul_f64 v[84:85], v[90:91], v[84:85]
	v_fma_f64 v[88:89], v[88:89], v[86:87], -v[84:85]
	buffer_load_dword v84, off, s[40:43], 0 offset:876 ; 4-byte Folded Reload
	buffer_load_dword v85, off, s[40:43], 0 offset:880 ; 4-byte Folded Reload
	buffer_load_dword v86, off, s[40:43], 0 offset:884 ; 4-byte Folded Reload
	buffer_load_dword v87, off, s[40:43], 0 offset:888 ; 4-byte Folded Reload
	s_waitcnt vmcnt(0)
	v_mul_f64 v[132:133], v[86:87], v[82:83]
	v_fmac_f64_e32 v[132:133], v[84:85], v[80:81]
	v_mul_f64 v[80:81], v[86:87], v[80:81]
	v_fma_f64 v[182:183], v[84:85], v[82:83], -v[80:81]
	buffer_load_dword v80, off, s[40:43], 0 offset:1060 ; 4-byte Folded Reload
	buffer_load_dword v81, off, s[40:43], 0 offset:1064 ; 4-byte Folded Reload
	buffer_load_dword v82, off, s[40:43], 0 offset:1068 ; 4-byte Folded Reload
	buffer_load_dword v83, off, s[40:43], 0 offset:1072 ; 4-byte Folded Reload
	s_waitcnt vmcnt(0)
	v_mul_f64 v[96:97], v[82:83], v[78:79]
	v_fmac_f64_e32 v[96:97], v[80:81], v[76:77]
	v_mul_f64 v[76:77], v[82:83], v[76:77]
	v_fma_f64 v[76:77], v[80:81], v[78:79], -v[76:77]
	buffer_load_dword v80, off, s[40:43], 0 offset:1012 ; 4-byte Folded Reload
	buffer_load_dword v81, off, s[40:43], 0 offset:1016 ; 4-byte Folded Reload
	buffer_load_dword v82, off, s[40:43], 0 offset:1020 ; 4-byte Folded Reload
	buffer_load_dword v83, off, s[40:43], 0 offset:1024 ; 4-byte Folded Reload
	s_waitcnt vmcnt(0)
	v_mul_f64 v[78:79], v[82:83], v[74:75]
	v_fmac_f64_e32 v[78:79], v[80:81], v[72:73]
	v_mul_f64 v[72:73], v[82:83], v[72:73]
	v_fma_f64 v[74:75], v[80:81], v[74:75], -v[72:73]
	buffer_load_dword v80, off, s[40:43], 0 offset:944 ; 4-byte Folded Reload
	buffer_load_dword v81, off, s[40:43], 0 offset:948 ; 4-byte Folded Reload
	buffer_load_dword v82, off, s[40:43], 0 offset:952 ; 4-byte Folded Reload
	buffer_load_dword v83, off, s[40:43], 0 offset:956 ; 4-byte Folded Reload
	s_waitcnt vmcnt(0)
	v_mul_f64 v[72:73], v[82:83], v[70:71]
	v_fmac_f64_e32 v[72:73], v[80:81], v[68:69]
	v_mul_f64 v[68:69], v[82:83], v[68:69]
	v_fma_f64 v[68:69], v[80:81], v[70:71], -v[68:69]
	buffer_load_dword v80, off, s[40:43], 0 offset:860 ; 4-byte Folded Reload
	buffer_load_dword v81, off, s[40:43], 0 offset:864 ; 4-byte Folded Reload
	buffer_load_dword v82, off, s[40:43], 0 offset:868 ; 4-byte Folded Reload
	buffer_load_dword v83, off, s[40:43], 0 offset:872 ; 4-byte Folded Reload
	s_waitcnt vmcnt(0) lgkmcnt(13)
	v_mul_f64 v[70:71], v[82:83], v[66:67]
	v_fmac_f64_e32 v[70:71], v[80:81], v[64:65]
	v_mul_f64 v[64:65], v[82:83], v[64:65]
	v_fma_f64 v[66:67], v[80:81], v[66:67], -v[64:65]
	buffer_load_dword v80, off, s[40:43], 0 offset:812 ; 4-byte Folded Reload
	buffer_load_dword v81, off, s[40:43], 0 offset:816 ; 4-byte Folded Reload
	buffer_load_dword v82, off, s[40:43], 0 offset:820 ; 4-byte Folded Reload
	buffer_load_dword v83, off, s[40:43], 0 offset:824 ; 4-byte Folded Reload
	s_waitcnt vmcnt(0) lgkmcnt(12)
	;; [unrolled: 9-line block ×11, first 2 shown]
	v_mul_f64 v[116:117], v[32:33], v[26:27]
	v_fmac_f64_e32 v[116:117], v[30:31], v[24:25]
	v_mul_f64 v[24:25], v[32:33], v[24:25]
	v_fma_f64 v[118:119], v[30:31], v[26:27], -v[24:25]
	buffer_load_dword v24, off, s[40:43], 0 offset:752 ; 4-byte Folded Reload
	buffer_load_dword v25, off, s[40:43], 0 offset:756 ; 4-byte Folded Reload
	;; [unrolled: 1-line block ×4, first 2 shown]
	s_waitcnt lgkmcnt(0)
	s_barrier
	s_waitcnt vmcnt(0)
	v_mul_f64 v[104:105], v[26:27], v[22:23]
	v_fmac_f64_e32 v[104:105], v[24:25], v[20:21]
	v_mul_f64 v[20:21], v[26:27], v[20:21]
	v_fma_f64 v[30:31], v[24:25], v[22:23], -v[20:21]
	v_add_f64 v[20:21], v[16:17], v[138:139]
	v_add_f64 v[32:33], v[20:21], v[172:173]
	v_add_f64 v[20:21], v[138:139], v[172:173]
	v_fmac_f64_e32 v[16:17], -0.5, v[20:21]
	v_add_f64 v[20:21], v[164:165], -v[186:187]
	v_fma_f64 v[34:35], s[26:27], v[20:21], v[16:17]
	v_fmac_f64_e32 v[16:17], s[24:25], v[20:21]
	v_add_f64 v[20:21], v[18:19], v[164:165]
	v_add_f64 v[38:39], v[20:21], v[186:187]
	v_add_f64 v[20:21], v[164:165], v[186:187]
	v_fmac_f64_e32 v[18:19], -0.5, v[20:21]
	v_add_f64 v[20:21], v[138:139], -v[172:173]
	v_fma_f64 v[40:41], s[24:25], v[20:21], v[18:19]
	v_fmac_f64_e32 v[18:19], s[26:27], v[20:21]
	;; [unrolled: 7-line block ×4, first 2 shown]
	v_mul_f64 v[46:47], v[44:45], s[26:27]
	v_mul_f64 v[48:49], v[184:185], s[26:27]
	v_mul_f64 v[44:45], v[44:45], 0.5
	v_mul_f64 v[50:51], v[184:185], -0.5
	v_add_f64 v[24:25], v[32:33], v[36:37]
	v_fmac_f64_e32 v[46:47], 0.5, v[22:23]
	v_fmac_f64_e32 v[48:49], -0.5, v[134:135]
	v_add_f64 v[26:27], v[38:39], v[42:43]
	v_fmac_f64_e32 v[44:45], s[24:25], v[22:23]
	v_fmac_f64_e32 v[50:51], s[24:25], v[134:135]
	v_add_f64 v[20:21], v[34:35], v[46:47]
	v_add_f64 v[164:165], v[16:17], v[48:49]
	;; [unrolled: 1-line block ×4, first 2 shown]
	v_add_f64 v[36:37], v[32:33], -v[36:37]
	v_add_f64 v[32:33], v[34:35], -v[46:47]
	;; [unrolled: 1-line block ×6, first 2 shown]
	ds_write_b128 v255, v[24:27]
	ds_write_b128 v255, v[20:23] offset:160
	ds_write_b128 v255, v[164:167] offset:320
	;; [unrolled: 1-line block ×5, first 2 shown]
	buffer_load_dword v16, off, s[40:43], 0 offset:284 ; 4-byte Folded Reload
	v_add_f64 v[40:41], v[12:13], v[130:131]
	v_add_f64 v[54:55], v[40:41], v[108:109]
	v_add_f64 v[40:41], v[130:131], v[108:109]
	v_fmac_f64_e32 v[12:13], -0.5, v[40:41]
	v_add_f64 v[40:41], v[136:137], -v[88:89]
	v_fma_f64 v[58:59], s[26:27], v[40:41], v[12:13]
	v_fmac_f64_e32 v[12:13], s[24:25], v[40:41]
	v_add_f64 v[40:41], v[14:15], v[136:137]
	v_add_f64 v[62:63], v[40:41], v[88:89]
	v_add_f64 v[40:41], v[136:137], v[88:89]
	v_fmac_f64_e32 v[14:15], -0.5, v[40:41]
	v_add_f64 v[40:41], v[130:131], -v[108:109]
	v_fma_f64 v[88:89], s[24:25], v[40:41], v[14:15]
	v_fmac_f64_e32 v[14:15], s[26:27], v[40:41]
	;; [unrolled: 7-line block ×4, first 2 shown]
	v_mul_f64 v[108:109], v[50:51], s[26:27]
	v_mul_f64 v[126:127], v[124:125], s[26:27]
	v_mul_f64 v[128:129], v[50:51], 0.5
	v_mul_f64 v[130:131], v[124:125], -0.5
	v_add_f64 v[44:45], v[54:55], v[56:57]
	v_fmac_f64_e32 v[108:109], 0.5, v[42:43]
	v_fmac_f64_e32 v[126:127], -0.5, v[122:123]
	v_add_f64 v[46:47], v[62:63], v[102:103]
	v_fmac_f64_e32 v[128:129], s[24:25], v[42:43]
	v_fmac_f64_e32 v[130:131], s[24:25], v[122:123]
	v_add_f64 v[40:41], v[58:59], v[108:109]
	v_add_f64 v[48:49], v[12:13], v[126:127]
	v_add_f64 v[42:43], v[88:89], v[128:129]
	v_add_f64 v[50:51], v[14:15], v[130:131]
	v_add_f64 v[56:57], v[54:55], -v[56:57]
	v_add_f64 v[122:123], v[58:59], -v[108:109]
	;; [unrolled: 1-line block ×6, first 2 shown]
	s_waitcnt vmcnt(0)
	ds_write_b128 v16, v[44:47]
	ds_write_b128 v16, v[40:43] offset:160
	ds_write_b128 v16, v[48:51] offset:320
	ds_write_b128 v16, v[56:59] offset:480
	ds_write_b128 v16, v[122:125] offset:640
	ds_write_b128 v16, v[12:15] offset:800
	buffer_load_dword v12, off, s[40:43], 0 offset:168 ; 4-byte Folded Reload
	v_add_f64 v[62:63], v[78:79], v[70:71]
	v_add_f64 v[54:55], v[8:9], v[78:79]
	v_fmac_f64_e32 v[8:9], -0.5, v[62:63]
	v_add_f64 v[62:63], v[74:75], -v[66:67]
	v_fma_f64 v[88:89], s[26:27], v[62:63], v[8:9]
	v_fmac_f64_e32 v[8:9], s[24:25], v[62:63]
	v_add_f64 v[62:63], v[10:11], v[74:75]
	v_add_f64 v[102:103], v[62:63], v[66:67]
	;; [unrolled: 1-line block ×3, first 2 shown]
	v_fmac_f64_e32 v[10:11], -0.5, v[62:63]
	v_add_f64 v[62:63], v[78:79], -v[70:71]
	v_fma_f64 v[74:75], s[24:25], v[62:63], v[10:11]
	v_fmac_f64_e32 v[10:11], s[26:27], v[62:63]
	v_add_f64 v[62:63], v[96:97], v[72:73]
	v_add_f64 v[78:79], v[62:63], v[64:65]
	v_add_f64 v[62:63], v[72:73], v[64:65]
	v_fmac_f64_e32 v[96:97], -0.5, v[62:63]
	v_add_f64 v[62:63], v[68:69], -v[60:61]
	v_add_f64 v[54:55], v[54:55], v[70:71]
	v_fma_f64 v[70:71], s[26:27], v[62:63], v[96:97]
	v_fmac_f64_e32 v[96:97], s[24:25], v[62:63]
	v_add_f64 v[62:63], v[76:77], v[68:69]
	v_add_f64 v[108:109], v[62:63], v[60:61]
	;; [unrolled: 1-line block ×3, first 2 shown]
	v_fmac_f64_e32 v[76:77], -0.5, v[60:61]
	v_add_f64 v[60:61], v[72:73], -v[64:65]
	v_fma_f64 v[62:63], s[24:25], v[60:61], v[76:77]
	v_fmac_f64_e32 v[76:77], s[26:27], v[60:61]
	v_mul_f64 v[72:73], v[62:63], s[26:27]
	v_mul_f64 v[126:127], v[76:77], s[26:27]
	v_mul_f64 v[128:129], v[62:63], 0.5
	v_mul_f64 v[130:131], v[76:77], -0.5
	v_add_f64 v[64:65], v[54:55], v[78:79]
	v_fmac_f64_e32 v[72:73], 0.5, v[70:71]
	v_fmac_f64_e32 v[126:127], -0.5, v[96:97]
	v_add_f64 v[66:67], v[102:103], v[108:109]
	v_fmac_f64_e32 v[128:129], s[24:25], v[70:71]
	v_fmac_f64_e32 v[130:131], s[24:25], v[96:97]
	v_add_f64 v[60:61], v[88:89], v[72:73]
	v_add_f64 v[68:69], v[8:9], v[126:127]
	;; [unrolled: 1-line block ×4, first 2 shown]
	v_add_f64 v[76:77], v[54:55], -v[78:79]
	v_add_f64 v[72:73], v[88:89], -v[72:73]
	;; [unrolled: 1-line block ×6, first 2 shown]
	s_waitcnt vmcnt(0)
	ds_write_b128 v12, v[64:67]
	ds_write_b128 v12, v[60:63] offset:160
	ds_write_b128 v12, v[68:71] offset:320
	;; [unrolled: 1-line block ×5, first 2 shown]
	buffer_load_dword v8, off, s[40:43], 0 offset:148 ; 4-byte Folded Reload
	v_add_f64 v[88:89], v[84:85], v[98:99]
	v_add_f64 v[54:55], v[4:5], v[84:85]
	v_fmac_f64_e32 v[4:5], -0.5, v[88:89]
	v_add_f64 v[88:89], v[52:53], -v[120:121]
	v_fma_f64 v[102:103], s[26:27], v[88:89], v[4:5]
	v_fmac_f64_e32 v[4:5], s[24:25], v[88:89]
	v_add_f64 v[88:89], v[6:7], v[52:53]
	v_add_f64 v[52:53], v[52:53], v[120:121]
	v_fmac_f64_e32 v[6:7], -0.5, v[52:53]
	v_add_f64 v[52:53], v[84:85], -v[98:99]
	v_add_f64 v[84:85], v[80:81], v[86:87]
	v_add_f64 v[108:109], v[88:89], v[120:121]
	v_fma_f64 v[120:121], s[24:25], v[52:53], v[6:7]
	v_fmac_f64_e32 v[6:7], s[26:27], v[52:53]
	v_add_f64 v[52:53], v[90:91], v[80:81]
	v_fmac_f64_e32 v[90:91], -0.5, v[84:85]
	v_add_f64 v[84:85], v[82:83], -v[94:95]
	v_fma_f64 v[96:97], s[26:27], v[84:85], v[90:91]
	v_fmac_f64_e32 v[90:91], s[24:25], v[84:85]
	v_add_f64 v[84:85], v[92:93], v[82:83]
	v_add_f64 v[82:83], v[82:83], v[94:95]
	v_fmac_f64_e32 v[92:93], -0.5, v[82:83]
	v_add_f64 v[80:81], v[80:81], -v[86:87]
	v_fma_f64 v[82:83], s[24:25], v[80:81], v[92:93]
	v_fmac_f64_e32 v[92:93], s[26:27], v[80:81]
	v_add_f64 v[54:55], v[54:55], v[98:99]
	v_add_f64 v[52:53], v[52:53], v[86:87]
	;; [unrolled: 1-line block ×3, first 2 shown]
	v_mul_f64 v[94:95], v[82:83], s[26:27]
	v_mul_f64 v[126:127], v[92:93], s[26:27]
	v_mul_f64 v[128:129], v[82:83], 0.5
	v_mul_f64 v[130:131], v[92:93], -0.5
	v_add_f64 v[84:85], v[54:55], v[52:53]
	v_fmac_f64_e32 v[94:95], 0.5, v[96:97]
	v_fmac_f64_e32 v[126:127], -0.5, v[90:91]
	v_add_f64 v[86:87], v[108:109], v[98:99]
	v_fmac_f64_e32 v[128:129], s[24:25], v[96:97]
	v_fmac_f64_e32 v[130:131], s[24:25], v[90:91]
	v_add_f64 v[80:81], v[102:103], v[94:95]
	v_add_f64 v[88:89], v[4:5], v[126:127]
	;; [unrolled: 1-line block ×4, first 2 shown]
	v_add_f64 v[96:97], v[54:55], -v[52:53]
	v_add_f64 v[92:93], v[102:103], -v[94:95]
	;; [unrolled: 1-line block ×6, first 2 shown]
	s_waitcnt vmcnt(0)
	ds_write_b128 v8, v[84:87]
	ds_write_b128 v8, v[80:83] offset:160
	ds_write_b128 v8, v[88:91] offset:320
	;; [unrolled: 1-line block ×5, first 2 shown]
	buffer_load_dword v4, off, s[40:43], 0 offset:144 ; 4-byte Folded Reload
	v_add_f64 v[54:55], v[106:107], v[116:117]
	v_add_f64 v[52:53], v[0:1], v[106:107]
	v_fmac_f64_e32 v[0:1], -0.5, v[54:55]
	v_add_f64 v[54:55], v[114:115], -v[118:119]
	v_add_f64 v[102:103], v[114:115], v[118:119]
	v_fma_f64 v[120:121], s[26:27], v[54:55], v[0:1]
	v_fmac_f64_e32 v[0:1], s[24:25], v[54:55]
	v_add_f64 v[54:55], v[2:3], v[114:115]
	v_fmac_f64_e32 v[2:3], -0.5, v[102:103]
	v_add_f64 v[102:103], v[106:107], -v[116:117]
	v_fma_f64 v[114:115], s[24:25], v[102:103], v[2:3]
	v_fmac_f64_e32 v[2:3], s[26:27], v[102:103]
	v_add_f64 v[102:103], v[110:111], v[100:101]
	v_add_f64 v[52:53], v[52:53], v[116:117]
	;; [unrolled: 1-line block ×4, first 2 shown]
	v_fmac_f64_e32 v[110:111], -0.5, v[102:103]
	v_add_f64 v[102:103], v[28:29], -v[30:31]
	v_add_f64 v[54:55], v[54:55], v[118:119]
	v_fma_f64 v[118:119], s[26:27], v[102:103], v[110:111]
	v_fmac_f64_e32 v[110:111], s[24:25], v[102:103]
	v_add_f64 v[102:103], v[112:113], v[28:29]
	v_add_f64 v[28:29], v[28:29], v[30:31]
	v_fmac_f64_e32 v[112:113], -0.5, v[28:29]
	v_add_f64 v[28:29], v[100:101], -v[104:105]
	v_add_f64 v[126:127], v[102:103], v[30:31]
	v_fma_f64 v[30:31], s[24:25], v[28:29], v[112:113]
	v_fmac_f64_e32 v[112:113], s[26:27], v[28:29]
	v_mul_f64 v[28:29], v[30:31], s[26:27]
	v_mul_f64 v[128:129], v[112:113], s[26:27]
	v_mul_f64 v[30:31], v[30:31], 0.5
	v_mul_f64 v[130:131], v[112:113], -0.5
	v_fmac_f64_e32 v[28:29], 0.5, v[118:119]
	v_fmac_f64_e32 v[128:129], -0.5, v[110:111]
	v_fmac_f64_e32 v[30:31], s[24:25], v[118:119]
	v_fmac_f64_e32 v[130:131], s[24:25], v[110:111]
	v_add_f64 v[104:105], v[52:53], v[116:117]
	v_add_f64 v[100:101], v[120:121], v[28:29]
	;; [unrolled: 1-line block ×6, first 2 shown]
	v_add_f64 v[116:117], v[52:53], -v[116:117]
	v_add_f64 v[112:113], v[120:121], -v[28:29]
	;; [unrolled: 1-line block ×6, first 2 shown]
	s_waitcnt vmcnt(0)
	ds_write_b128 v4, v[104:107]
	ds_write_b128 v4, v[100:103] offset:160
	ds_write_b128 v4, v[108:111] offset:320
	;; [unrolled: 1-line block ×5, first 2 shown]
	s_waitcnt lgkmcnt(0)
	s_barrier
	ds_read_b128 v[36:39], v171
	ds_read_b128 v[116:119], v171 offset:30720
	ds_read_b128 v[56:59], v171 offset:2048
	;; [unrolled: 1-line block ×29, first 2 shown]
	buffer_load_dword v122, off, s[40:43], 0 offset:1128 ; 4-byte Folded Reload
	buffer_load_dword v123, off, s[40:43], 0 offset:1132 ; 4-byte Folded Reload
	;; [unrolled: 1-line block ×4, first 2 shown]
	s_waitcnt vmcnt(0) lgkmcnt(14)
	v_mul_f64 v[120:121], v[124:125], v[118:119]
	v_fmac_f64_e32 v[120:121], v[122:123], v[116:117]
	v_mul_f64 v[116:117], v[124:125], v[116:117]
	buffer_load_dword v124, off, s[40:43], 0 offset:1148 ; 4-byte Folded Reload
	buffer_load_dword v125, off, s[40:43], 0 offset:1152 ; 4-byte Folded Reload
	buffer_load_dword v126, off, s[40:43], 0 offset:1156 ; 4-byte Folded Reload
	buffer_load_dword v127, off, s[40:43], 0 offset:1160 ; 4-byte Folded Reload
	v_fma_f64 v[116:117], v[122:123], v[118:119], -v[116:117]
	s_waitcnt vmcnt(0)
	v_mul_f64 v[122:123], v[126:127], v[114:115]
	v_fmac_f64_e32 v[122:123], v[124:125], v[112:113]
	v_mul_f64 v[112:113], v[126:127], v[112:113]
	v_fma_f64 v[124:125], v[124:125], v[114:115], -v[112:113]
	buffer_load_dword v112, off, s[40:43], 0 offset:1168 ; 4-byte Folded Reload
	buffer_load_dword v113, off, s[40:43], 0 offset:1172 ; 4-byte Folded Reload
	;; [unrolled: 1-line block ×4, first 2 shown]
	s_waitcnt vmcnt(0)
	v_mul_f64 v[126:127], v[114:115], v[110:111]
	v_fmac_f64_e32 v[126:127], v[112:113], v[108:109]
	v_mul_f64 v[108:109], v[114:115], v[108:109]
	v_fma_f64 v[128:129], v[112:113], v[110:111], -v[108:109]
	buffer_load_dword v108, off, s[40:43], 0 offset:1188 ; 4-byte Folded Reload
	buffer_load_dword v109, off, s[40:43], 0 offset:1192 ; 4-byte Folded Reload
	;; [unrolled: 1-line block ×4, first 2 shown]
	v_add_f64 v[112:113], v[36:37], -v[120:121]
	v_add_f64 v[114:115], v[38:39], -v[116:117]
	v_fma_f64 v[116:117], v[36:37], 2.0, -v[112:113]
	s_waitcnt lgkmcnt(0)
	s_barrier
	v_fma_f64 v[118:119], v[38:39], 2.0, -v[114:115]
	s_waitcnt vmcnt(0)
	v_mul_f64 v[130:131], v[110:111], v[106:107]
	v_fmac_f64_e32 v[130:131], v[108:109], v[104:105]
	v_mul_f64 v[104:105], v[110:111], v[104:105]
	v_fma_f64 v[132:133], v[108:109], v[106:107], -v[104:105]
	v_accvgpr_read_b32 v104, a250
	v_accvgpr_read_b32 v106, a252
	v_accvgpr_read_b32 v107, a253
	v_accvgpr_read_b32 v105, a251
	v_mul_f64 v[134:135], v[106:107], v[102:103]
	v_fmac_f64_e32 v[134:135], v[104:105], v[100:101]
	v_mul_f64 v[100:101], v[106:107], v[100:101]
	v_fma_f64 v[136:137], v[104:105], v[102:103], -v[100:101]
	v_accvgpr_read_b32 v100, a246
	v_accvgpr_read_b32 v102, a248
	v_accvgpr_read_b32 v103, a249
	v_accvgpr_read_b32 v101, a247
	;; [unrolled: 8-line block ×10, first 2 shown]
	v_mul_f64 v[68:69], v[72:73], v[66:67]
	v_fmac_f64_e32 v[68:69], v[70:71], v[64:65]
	v_mul_f64 v[64:65], v[72:73], v[64:65]
	v_accvgpr_read_b32 v72, a170
	v_accvgpr_read_b32 v74, a172
	v_accvgpr_read_b32 v75, a173
	v_fma_f64 v[70:71], v[70:71], v[66:67], -v[64:65]
	v_accvgpr_read_b32 v73, a171
	v_mul_f64 v[64:65], v[74:75], v[62:63]
	v_fmac_f64_e32 v[64:65], v[72:73], v[60:61]
	v_mul_f64 v[60:61], v[74:75], v[60:61]
	v_add_f64 v[82:83], v[46:47], -v[136:137]
	v_add_f64 v[136:137], v[32:33], -v[166:167]
	v_fma_f64 v[66:67], v[72:73], v[62:63], -v[60:61]
	v_add_f64 v[88:89], v[48:49], -v[130:131]
	v_add_f64 v[90:91], v[50:51], -v[132:133]
	;; [unrolled: 1-line block ×3, first 2 shown]
	v_fma_f64 v[132:133], v[32:33], 2.0, -v[136:137]
	v_add_f64 v[32:33], v[16:17], -v[84:85]
	v_add_f64 v[104:105], v[56:57], -v[122:123]
	;; [unrolled: 1-line block ×5, first 2 shown]
	v_fma_f64 v[128:129], v[48:49], 2.0, -v[88:89]
	v_add_f64 v[80:81], v[44:45], -v[134:135]
	v_fma_f64 v[124:125], v[40:41], 2.0, -v[72:73]
	v_add_f64 v[48:49], v[24:25], -v[184:185]
	v_add_f64 v[40:41], v[20:21], -v[188:189]
	v_fma_f64 v[36:37], v[16:17], 2.0, -v[32:33]
	v_add_f64 v[16:17], v[8:9], -v[92:93]
	v_fma_f64 v[108:109], v[56:57], 2.0, -v[104:105]
	v_fma_f64 v[100:101], v[52:53], 2.0, -v[96:97]
	;; [unrolled: 1-line block ×3, first 2 shown]
	v_add_f64 v[56:57], v[28:29], -v[172:173]
	v_fma_f64 v[52:53], v[24:25], 2.0, -v[48:49]
	v_fma_f64 v[44:45], v[20:21], 2.0, -v[40:41]
	v_add_f64 v[24:25], v[12:13], -v[76:77]
	v_fma_f64 v[20:21], v[8:9], 2.0, -v[16:17]
	v_add_f64 v[8:9], v[0:1], -v[68:69]
	v_fma_f64 v[60:61], v[28:29], 2.0, -v[56:57]
	v_fma_f64 v[28:29], v[12:13], 2.0, -v[24:25]
	;; [unrolled: 1-line block ×3, first 2 shown]
	v_add_f64 v[0:1], v[4:5], -v[64:65]
	buffer_load_dword v64, off, s[40:43], 0 offset:684 ; 4-byte Folded Reload
	s_waitcnt vmcnt(0)
	ds_write_b128 v64, v[116:119]
	ds_write_b128 v64, v[112:115] offset:960
	buffer_load_dword v64, off, s[40:43], 0 offset:560 ; 4-byte Folded Reload
	v_fma_f64 v[110:111], v[58:59], 2.0, -v[106:107]
	s_waitcnt vmcnt(0)
	ds_write_b128 v64, v[108:111]
	ds_write_b128 v64, v[104:107] offset:960
	buffer_load_dword v64, off, s[40:43], 0 offset:664 ; 4-byte Folded Reload
	v_fma_f64 v[102:103], v[54:55], 2.0, -v[98:99]
	;; [unrolled: 5-line block ×4, first 2 shown]
	s_waitcnt vmcnt(0)
	ds_write_b128 v64, v[120:123]
	ds_write_b128 v64, v[80:83] offset:960
	buffer_load_dword v64, off, s[40:43], 0 offset:592 ; 4-byte Folded Reload
	v_add_f64 v[74:75], v[42:43], -v[164:165]
	v_fma_f64 v[126:127], v[42:43], 2.0, -v[74:75]
	s_waitcnt vmcnt(0)
	ds_write_b128 v64, v[124:127]
	ds_write_b128 v64, v[72:75] offset:960
	buffer_load_dword v64, off, s[40:43], 0 offset:584 ; 4-byte Folded Reload
	v_add_f64 v[138:139], v[34:35], -v[168:169]
	v_fma_f64 v[134:135], v[34:35], 2.0, -v[138:139]
	;; [unrolled: 6-line block ×9, first 2 shown]
	s_waitcnt vmcnt(0)
	ds_write_b128 v16, v[12:15]
	ds_write_b128 v16, v[8:11] offset:960
	buffer_load_dword v8, off, s[40:43], 0 offset:288 ; 4-byte Folded Reload
	v_add_f64 v[2:3], v[6:7], -v[66:67]
	v_accvgpr_read_b32 v122, a234
	v_fma_f64 v[4:5], v[4:5], 2.0, -v[0:1]
	v_fma_f64 v[6:7], v[6:7], 2.0, -v[2:3]
	v_accvgpr_read_b32 v124, a236
	v_accvgpr_read_b32 v125, a237
	s_waitcnt vmcnt(0)
	ds_write_b128 v8, v[4:7]
	ds_write_b128 v8, v[0:3] offset:960
	s_waitcnt lgkmcnt(0)
	s_barrier
	ds_read_b128 v[36:39], v171
	ds_read_b128 v[116:119], v171 offset:30720
	ds_read_b128 v[56:59], v171 offset:2048
	;; [unrolled: 1-line block ×29, first 2 shown]
	v_accvgpr_read_b32 v123, a235
	s_waitcnt lgkmcnt(14)
	v_mul_f64 v[120:121], v[124:125], v[118:119]
	v_fmac_f64_e32 v[120:121], v[122:123], v[116:117]
	v_mul_f64 v[116:117], v[124:125], v[116:117]
	v_accvgpr_read_b32 v124, a222
	v_accvgpr_read_b32 v126, a224
	;; [unrolled: 1-line block ×3, first 2 shown]
	v_fma_f64 v[116:117], v[122:123], v[118:119], -v[116:117]
	v_accvgpr_read_b32 v125, a223
	v_mul_f64 v[122:123], v[126:127], v[114:115]
	v_fmac_f64_e32 v[122:123], v[124:125], v[112:113]
	v_mul_f64 v[112:113], v[126:127], v[112:113]
	v_fma_f64 v[124:125], v[124:125], v[114:115], -v[112:113]
	v_accvgpr_read_b32 v112, a218
	v_accvgpr_read_b32 v114, a220
	v_accvgpr_read_b32 v115, a221
	v_accvgpr_read_b32 v113, a219
	v_mul_f64 v[126:127], v[114:115], v[110:111]
	v_fmac_f64_e32 v[126:127], v[112:113], v[108:109]
	v_mul_f64 v[108:109], v[114:115], v[108:109]
	v_fma_f64 v[128:129], v[112:113], v[110:111], -v[108:109]
	v_accvgpr_read_b32 v108, a206
	v_accvgpr_read_b32 v110, a208
	v_accvgpr_read_b32 v111, a209
	;; [unrolled: 8-line block ×7, first 2 shown]
	v_accvgpr_read_b32 v89, a163
	s_waitcnt lgkmcnt(12)
	v_mul_f64 v[184:185], v[90:91], v[86:87]
	v_fmac_f64_e32 v[184:185], v[88:89], v[84:85]
	v_mul_f64 v[84:85], v[90:91], v[84:85]
	v_fma_f64 v[186:187], v[88:89], v[86:87], -v[84:85]
	v_accvgpr_read_b32 v84, a154
	v_accvgpr_read_b32 v86, a156
	v_accvgpr_read_b32 v87, a157
	v_accvgpr_read_b32 v85, a155
	s_waitcnt lgkmcnt(10)
	v_mul_f64 v[188:189], v[86:87], v[82:83]
	v_fmac_f64_e32 v[188:189], v[84:85], v[80:81]
	v_mul_f64 v[80:81], v[86:87], v[80:81]
	v_fma_f64 v[254:255], v[84:85], v[82:83], -v[80:81]
	v_accvgpr_read_b32 v80, a238
	v_accvgpr_read_b32 v82, a240
	v_accvgpr_read_b32 v83, a241
	;; [unrolled: 9-line block ×5, first 2 shown]
	v_accvgpr_read_b32 v71, a113
	s_waitcnt lgkmcnt(2)
	v_mul_f64 v[68:69], v[72:73], v[66:67]
	v_fmac_f64_e32 v[68:69], v[70:71], v[64:65]
	v_mul_f64 v[64:65], v[72:73], v[64:65]
	v_accvgpr_read_b32 v72, a104
	v_accvgpr_read_b32 v74, a106
	;; [unrolled: 1-line block ×3, first 2 shown]
	v_fma_f64 v[70:71], v[70:71], v[66:67], -v[64:65]
	v_accvgpr_read_b32 v73, a105
	s_waitcnt lgkmcnt(0)
	v_mul_f64 v[64:65], v[74:75], v[62:63]
	v_fmac_f64_e32 v[64:65], v[72:73], v[60:61]
	v_mul_f64 v[60:61], v[74:75], v[60:61]
	v_add_f64 v[82:83], v[46:47], -v[136:137]
	v_add_f64 v[136:137], v[32:33], -v[166:167]
	v_fma_f64 v[66:67], v[72:73], v[62:63], -v[60:61]
	v_add_f64 v[112:113], v[36:37], -v[120:121]
	v_add_f64 v[88:89], v[48:49], -v[130:131]
	;; [unrolled: 1-line block ×4, first 2 shown]
	v_fma_f64 v[132:133], v[32:33], 2.0, -v[136:137]
	v_add_f64 v[32:33], v[16:17], -v[84:85]
	v_add_f64 v[114:115], v[38:39], -v[116:117]
	v_fma_f64 v[116:117], v[36:37], 2.0, -v[112:113]
	v_add_f64 v[104:105], v[56:57], -v[122:123]
	v_add_f64 v[106:107], v[58:59], -v[124:125]
	;; [unrolled: 1-line block ×4, first 2 shown]
	v_fma_f64 v[128:129], v[48:49], 2.0, -v[88:89]
	v_add_f64 v[80:81], v[44:45], -v[134:135]
	v_fma_f64 v[124:125], v[40:41], 2.0, -v[72:73]
	v_add_f64 v[48:49], v[24:25], -v[184:185]
	v_add_f64 v[40:41], v[20:21], -v[188:189]
	v_fma_f64 v[36:37], v[16:17], 2.0, -v[32:33]
	v_add_f64 v[16:17], v[8:9], -v[92:93]
	v_fma_f64 v[108:109], v[56:57], 2.0, -v[104:105]
	v_fma_f64 v[100:101], v[52:53], 2.0, -v[96:97]
	v_fma_f64 v[120:121], v[44:45], 2.0, -v[80:81]
	v_add_f64 v[56:57], v[28:29], -v[172:173]
	v_fma_f64 v[52:53], v[24:25], 2.0, -v[48:49]
	v_fma_f64 v[44:45], v[20:21], 2.0, -v[40:41]
	v_add_f64 v[24:25], v[12:13], -v[76:77]
	v_fma_f64 v[20:21], v[8:9], 2.0, -v[16:17]
	v_add_f64 v[8:9], v[0:1], -v[68:69]
	v_fma_f64 v[60:61], v[28:29], 2.0, -v[56:57]
	v_fma_f64 v[28:29], v[12:13], 2.0, -v[24:25]
	v_fma_f64 v[12:13], v[0:1], 2.0, -v[8:9]
	v_add_f64 v[0:1], v[4:5], -v[64:65]
	s_barrier
	buffer_load_dword v64, off, s[40:43], 0 offset:688 ; 4-byte Folded Reload
	v_fma_f64 v[118:119], v[38:39], 2.0, -v[114:115]
	s_waitcnt vmcnt(0)
	ds_write_b128 v64, v[116:119]
	ds_write_b128 v64, v[112:115] offset:1920
	buffer_load_dword v64, off, s[40:43], 0 offset:604 ; 4-byte Folded Reload
	v_fma_f64 v[110:111], v[58:59], 2.0, -v[106:107]
	s_waitcnt vmcnt(0)
	ds_write_b128 v64, v[108:111]
	ds_write_b128 v64, v[104:107] offset:1920
	;; [unrolled: 5-line block ×5, first 2 shown]
	buffer_load_dword v64, off, s[40:43], 0 offset:772 ; 4-byte Folded Reload
	v_add_f64 v[74:75], v[42:43], -v[164:165]
	v_fma_f64 v[126:127], v[42:43], 2.0, -v[74:75]
	s_waitcnt vmcnt(0)
	ds_write_b128 v64, v[124:127]
	ds_write_b128 v64, v[72:75] offset:1920
	buffer_load_dword v64, off, s[40:43], 0 offset:596 ; 4-byte Folded Reload
	v_add_f64 v[138:139], v[34:35], -v[168:169]
	v_fma_f64 v[134:135], v[34:35], 2.0, -v[138:139]
	s_waitcnt vmcnt(0)
	ds_write_b128 v64, v[132:135]
	ds_write_b128 v64, v[136:139] offset:1920
	;; [unrolled: 6-line block ×9, first 2 shown]
	buffer_load_dword v8, off, s[40:43], 0 offset:716 ; 4-byte Folded Reload
	v_add_f64 v[2:3], v[6:7], -v[66:67]
	v_accvgpr_read_b32 v122, a186
	v_fma_f64 v[4:5], v[4:5], 2.0, -v[0:1]
	v_fma_f64 v[6:7], v[6:7], 2.0, -v[2:3]
	v_accvgpr_read_b32 v124, a188
	v_accvgpr_read_b32 v125, a189
	s_waitcnt vmcnt(0)
	ds_write_b128 v8, v[4:7]
	ds_write_b128 v8, v[0:3] offset:1920
	s_waitcnt lgkmcnt(0)
	s_barrier
	ds_read_b128 v[56:59], v171
	ds_read_b128 v[116:119], v171 offset:30720
	ds_read_b128 v[52:55], v171 offset:2048
	;; [unrolled: 1-line block ×29, first 2 shown]
	v_accvgpr_read_b32 v123, a187
	s_waitcnt lgkmcnt(14)
	v_mul_f64 v[120:121], v[124:125], v[118:119]
	v_fmac_f64_e32 v[120:121], v[122:123], v[116:117]
	v_mul_f64 v[116:117], v[124:125], v[116:117]
	v_fma_f64 v[116:117], v[122:123], v[118:119], -v[116:117]
	v_accvgpr_read_b32 v122, a178
	v_accvgpr_read_b32 v124, a180
	v_accvgpr_read_b32 v125, a181
	v_accvgpr_read_b32 v123, a179
	v_mul_f64 v[118:119], v[124:125], v[114:115]
	v_fmac_f64_e32 v[118:119], v[122:123], v[112:113]
	v_mul_f64 v[112:113], v[124:125], v[112:113]
	v_fma_f64 v[122:123], v[122:123], v[114:115], -v[112:113]
	v_accvgpr_read_b32 v112, a158
	v_accvgpr_read_b32 v114, a160
	v_accvgpr_read_b32 v115, a161
	v_accvgpr_read_b32 v113, a159
	;; [unrolled: 8-line block ×8, first 2 shown]
	s_waitcnt lgkmcnt(12)
	v_mul_f64 v[182:183], v[90:91], v[86:87]
	v_fmac_f64_e32 v[182:183], v[88:89], v[84:85]
	v_mul_f64 v[84:85], v[90:91], v[84:85]
	v_fma_f64 v[184:185], v[88:89], v[86:87], -v[84:85]
	v_accvgpr_read_b32 v84, a92
	v_accvgpr_read_b32 v86, a94
	v_accvgpr_read_b32 v87, a95
	v_accvgpr_read_b32 v85, a93
	s_waitcnt lgkmcnt(10)
	v_mul_f64 v[186:187], v[86:87], v[82:83]
	v_fmac_f64_e32 v[186:187], v[84:85], v[80:81]
	v_mul_f64 v[80:81], v[86:87], v[80:81]
	v_fma_f64 v[188:189], v[84:85], v[82:83], -v[80:81]
	v_accvgpr_read_b32 v80, a88
	v_accvgpr_read_b32 v82, a90
	v_accvgpr_read_b32 v83, a91
	v_accvgpr_read_b32 v81, a89
	s_waitcnt lgkmcnt(8)
	v_mul_f64 v[254:255], v[82:83], v[78:79]
	v_fmac_f64_e32 v[254:255], v[80:81], v[76:77]
	v_mul_f64 v[76:77], v[82:83], v[76:77]
	v_fma_f64 v[76:77], v[80:81], v[78:79], -v[76:77]
	v_accvgpr_read_b32 v83, a79
	v_accvgpr_read_b32 v82, a78
	v_accvgpr_read_b32 v81, a77
	v_accvgpr_read_b32 v80, a76
	s_waitcnt lgkmcnt(6)
	v_mul_f64 v[78:79], v[82:83], v[74:75]
	v_fmac_f64_e32 v[78:79], v[80:81], v[72:73]
	v_mul_f64 v[72:73], v[82:83], v[72:73]
	v_fma_f64 v[84:85], v[80:81], v[74:75], -v[72:73]
	v_accvgpr_read_b32 v72, a72
	v_accvgpr_read_b32 v74, a74
	v_accvgpr_read_b32 v75, a75
	v_accvgpr_read_b32 v73, a73
	s_waitcnt lgkmcnt(4)
	v_mul_f64 v[86:87], v[74:75], v[70:71]
	v_fmac_f64_e32 v[86:87], v[72:73], v[68:69]
	v_mul_f64 v[68:69], v[74:75], v[68:69]
	v_fma_f64 v[68:69], v[72:73], v[70:71], -v[68:69]
	v_accvgpr_read_b32 v75, a67
	v_accvgpr_read_b32 v74, a66
	v_accvgpr_read_b32 v73, a65
	v_accvgpr_read_b32 v72, a64
	s_waitcnt lgkmcnt(2)
	v_mul_f64 v[70:71], v[74:75], v[66:67]
	v_fmac_f64_e32 v[70:71], v[72:73], v[64:65]
	v_mul_f64 v[64:65], v[74:75], v[64:65]
	v_fma_f64 v[64:65], v[72:73], v[66:67], -v[64:65]
	v_accvgpr_read_b32 v75, a63
	v_accvgpr_read_b32 v74, a62
	v_accvgpr_read_b32 v73, a61
	v_accvgpr_read_b32 v72, a60
	s_waitcnt lgkmcnt(0)
	v_mul_f64 v[66:67], v[74:75], v[62:63]
	v_add_f64 v[82:83], v[42:43], -v[134:135]
	v_add_f64 v[134:135], v[34:35], -v[166:167]
	v_fmac_f64_e32 v[66:67], v[72:73], v[60:61]
	v_mul_f64 v[60:61], v[74:75], v[60:61]
	v_add_f64 v[104:105], v[56:57], -v[120:121]
	v_add_f64 v[106:107], v[58:59], -v[116:117]
	v_add_f64 v[94:95], v[50:51], -v[126:127]
	v_add_f64 v[90:91], v[46:47], -v[130:131]
	v_add_f64 v[74:75], v[38:39], -v[138:139]
	v_fma_f64 v[130:131], v[34:35], 2.0, -v[134:135]
	v_add_f64 v[34:35], v[18:19], -v[76:77]
	v_fma_f64 v[112:113], v[56:57], 2.0, -v[104:105]
	v_fma_f64 v[114:115], v[58:59], 2.0, -v[106:107]
	v_add_f64 v[110:111], v[54:55], -v[122:123]
	v_fma_f64 v[102:103], v[50:51], 2.0, -v[94:95]
	v_fma_f64 v[126:127], v[42:43], 2.0, -v[82:83]
	;; [unrolled: 1-line block ×3, first 2 shown]
	v_add_f64 v[50:51], v[26:27], -v[184:185]
	v_add_f64 v[42:43], v[22:23], -v[188:189]
	v_fma_f64 v[38:39], v[18:19], 2.0, -v[34:35]
	v_add_f64 v[18:19], v[10:11], -v[68:69]
	v_fma_f64 v[60:61], v[72:73], v[62:63], -v[60:61]
	v_add_f64 v[108:109], v[52:53], -v[118:119]
	v_fma_f64 v[118:119], v[54:55], 2.0, -v[110:111]
	v_fma_f64 v[98:99], v[46:47], 2.0, -v[90:91]
	v_add_f64 v[58:59], v[30:31], -v[172:173]
	v_fma_f64 v[54:55], v[26:27], 2.0, -v[50:51]
	v_fma_f64 v[46:47], v[22:23], 2.0, -v[42:43]
	v_add_f64 v[26:27], v[14:15], -v[84:85]
	v_fma_f64 v[22:23], v[10:11], 2.0, -v[18:19]
	v_add_f64 v[10:11], v[2:3], -v[64:65]
	s_barrier
	ds_write_b128 v171, v[112:115]
	ds_write_b128 v171, v[104:107] offset:3840
	v_fma_f64 v[138:139], v[30:31], 2.0, -v[58:59]
	v_fma_f64 v[30:31], v[14:15], 2.0, -v[26:27]
	;; [unrolled: 1-line block ×3, first 2 shown]
	v_add_f64 v[2:3], v[6:7], -v[60:61]
	buffer_load_dword v60, off, s[40:43], 0 offset:920 ; 4-byte Folded Reload
	v_fma_f64 v[116:117], v[52:53], 2.0, -v[108:109]
	v_add_f64 v[92:93], v[48:49], -v[124:125]
	v_fma_f64 v[100:101], v[48:49], 2.0, -v[92:93]
	s_waitcnt vmcnt(0)
	ds_write_b128 v60, v[116:119]
	ds_write_b128 v60, v[108:111] offset:3840
	ds_write_b128 v171, v[100:103] offset:7936
	;; [unrolled: 1-line block ×3, first 2 shown]
	buffer_load_dword v60, off, s[40:43], 0 offset:916 ; 4-byte Folded Reload
	v_add_f64 v[88:89], v[44:45], -v[128:129]
	v_fma_f64 v[96:97], v[44:45], 2.0, -v[88:89]
	s_waitcnt vmcnt(0)
	ds_write_b128 v60, v[96:99]
	ds_write_b128 v60, v[88:91] offset:3840
	buffer_load_dword v60, off, s[40:43], 0 offset:1108 ; 4-byte Folded Reload
	v_add_f64 v[80:81], v[40:41], -v[132:133]
	v_fma_f64 v[124:125], v[40:41], 2.0, -v[80:81]
	s_waitcnt vmcnt(0)
	ds_write_b128 v60, v[124:127] offset:15360
	ds_write_b128 v60, v[80:83] offset:19200
	buffer_load_dword v60, off, s[40:43], 0 offset:1104 ; 4-byte Folded Reload
	v_add_f64 v[72:73], v[36:37], -v[136:137]
	v_fma_f64 v[120:121], v[36:37], 2.0, -v[72:73]
	s_waitcnt vmcnt(0)
	ds_write_b128 v60, v[120:123]
	ds_write_b128 v60, v[72:75] offset:3840
	buffer_load_dword v60, off, s[40:43], 0 offset:1116 ; 4-byte Folded Reload
	v_add_f64 v[132:133], v[32:33], -v[164:165]
	v_fma_f64 v[128:129], v[32:33], 2.0, -v[132:133]
	s_waitcnt vmcnt(0)
	ds_write_b128 v60, v[128:131] offset:23040
	ds_write_b128 v60, v[132:135] offset:26880
	;; [unrolled: 12-line block ×5, first 2 shown]
	buffer_load_dword v16, off, s[40:43], 0 offset:692 ; 4-byte Folded Reload
	v_add_f64 v[8:9], v[0:1], -v[70:71]
	v_fma_f64 v[12:13], v[0:1], 2.0, -v[8:9]
	s_waitcnt vmcnt(0)
	ds_write_b128 v16, v[12:15]
	ds_write_b128 v16, v[8:11] offset:3840
	buffer_load_dword v8, off, s[40:43], 0 offset:912 ; 4-byte Folded Reload
	v_add_f64 v[0:1], v[4:5], -v[66:67]
	v_accvgpr_read_b32 v122, a128
	v_fma_f64 v[4:5], v[4:5], 2.0, -v[0:1]
	v_fma_f64 v[6:7], v[6:7], 2.0, -v[2:3]
	v_accvgpr_read_b32 v124, a130
	v_accvgpr_read_b32 v125, a131
	s_waitcnt vmcnt(0)
	ds_write_b128 v8, v[4:7] offset:53760
	ds_write_b128 v8, v[0:3] offset:57600
	s_waitcnt lgkmcnt(0)
	s_barrier
	ds_read_b128 v[56:59], v171
	ds_read_b128 v[116:119], v171 offset:30720
	ds_read_b128 v[52:55], v171 offset:2048
	;; [unrolled: 1-line block ×29, first 2 shown]
	v_accvgpr_read_b32 v123, a129
	s_waitcnt lgkmcnt(14)
	v_mul_f64 v[120:121], v[124:125], v[118:119]
	v_fmac_f64_e32 v[120:121], v[122:123], v[116:117]
	v_mul_f64 v[116:117], v[124:125], v[116:117]
	v_fma_f64 v[116:117], v[122:123], v[118:119], -v[116:117]
	v_accvgpr_read_b32 v122, a124
	v_accvgpr_read_b32 v124, a126
	v_accvgpr_read_b32 v125, a127
	v_accvgpr_read_b32 v123, a125
	v_mul_f64 v[118:119], v[124:125], v[114:115]
	v_fmac_f64_e32 v[118:119], v[122:123], v[112:113]
	v_mul_f64 v[112:113], v[124:125], v[112:113]
	v_fma_f64 v[112:113], v[122:123], v[114:115], -v[112:113]
	v_accvgpr_read_b32 v125, a123
	v_accvgpr_read_b32 v124, a122
	v_accvgpr_read_b32 v123, a121
	v_accvgpr_read_b32 v122, a120
	;; [unrolled: 8-line block ×8, first 2 shown]
	s_waitcnt lgkmcnt(12)
	v_mul_f64 v[168:169], v[90:91], v[86:87]
	v_fmac_f64_e32 v[168:169], v[88:89], v[84:85]
	v_mul_f64 v[84:85], v[90:91], v[84:85]
	v_fma_f64 v[172:173], v[88:89], v[86:87], -v[84:85]
	v_accvgpr_read_b32 v87, a17
	v_accvgpr_read_b32 v86, a16
	v_accvgpr_read_b32 v85, a15
	v_accvgpr_read_b32 v84, a14
	s_waitcnt lgkmcnt(10)
	v_mul_f64 v[182:183], v[86:87], v[82:83]
	v_fmac_f64_e32 v[182:183], v[84:85], v[80:81]
	v_mul_f64 v[80:81], v[86:87], v[80:81]
	v_fma_f64 v[184:185], v[84:85], v[82:83], -v[80:81]
	v_accvgpr_read_b32 v83, a13
	v_accvgpr_read_b32 v82, a12
	v_accvgpr_read_b32 v81, a11
	v_accvgpr_read_b32 v80, a10
	;; [unrolled: 9-line block ×3, first 2 shown]
	s_waitcnt lgkmcnt(6)
	v_mul_f64 v[254:255], v[78:79], v[74:75]
	v_fmac_f64_e32 v[254:255], v[76:77], v[72:73]
	v_mul_f64 v[72:73], v[78:79], v[72:73]
	v_fma_f64 v[72:73], v[76:77], v[74:75], -v[72:73]
	v_accvgpr_read_b32 v79, a5
	v_accvgpr_read_b32 v78, a4
	s_waitcnt lgkmcnt(2)
	v_mul_f64 v[82:83], v[252:253], v[66:67]
	v_accvgpr_read_b32 v77, a3
	v_accvgpr_read_b32 v76, a2
	v_mul_f64 v[74:75], v[78:79], v[70:71]
	v_fmac_f64_e32 v[82:83], v[250:251], v[64:65]
	v_mul_f64 v[64:65], v[252:253], v[64:65]
	s_waitcnt lgkmcnt(0)
	v_mul_f64 v[252:253], v[248:249], v[62:63]
	v_add_f64 v[98:99], v[50:51], -v[122:123]
	v_fmac_f64_e32 v[74:75], v[76:77], v[68:69]
	v_mul_f64 v[68:69], v[78:79], v[68:69]
	v_fmac_f64_e32 v[252:253], v[246:247], v[60:61]
	v_mul_f64 v[60:61], v[248:249], v[60:61]
	v_add_f64 v[88:89], v[56:57], -v[120:121]
	v_add_f64 v[90:91], v[58:59], -v[116:117]
	;; [unrolled: 1-line block ×4, first 2 shown]
	v_fma_f64 v[114:115], v[50:51], 2.0, -v[98:99]
	v_add_f64 v[100:101], v[44:45], -v[124:125]
	v_add_f64 v[102:103], v[46:47], -v[126:127]
	;; [unrolled: 1-line block ×3, first 2 shown]
	v_fma_f64 v[80:81], v[76:77], v[70:71], -v[68:69]
	v_fma_f64 v[246:247], v[246:247], v[62:63], -v[60:61]
	v_fma_f64 v[104:105], v[56:57], 2.0, -v[88:89]
	v_fma_f64 v[106:107], v[58:59], 2.0, -v[90:91]
	v_add_f64 v[92:93], v[52:53], -v[118:119]
	v_fma_f64 v[110:111], v[54:55], 2.0, -v[94:95]
	v_fma_f64 v[116:117], v[44:45], 2.0, -v[100:101]
	;; [unrolled: 1-line block ×3, first 2 shown]
	v_add_f64 v[76:77], v[40:41], -v[128:129]
	v_add_f64 v[78:79], v[42:43], -v[130:131]
	;; [unrolled: 1-line block ×8, first 2 shown]
	v_fma_f64 v[54:55], v[26:27], 2.0, -v[50:51]
	v_add_f64 v[26:27], v[14:15], -v[72:73]
	v_accvgpr_read_b32 v72, a141
	v_fma_f64 v[250:251], v[250:251], v[66:67], -v[64:65]
	v_fma_f64 v[108:109], v[52:53], 2.0, -v[92:93]
	v_fma_f64 v[112:113], v[48:49], 2.0, -v[96:97]
	;; [unrolled: 1-line block ×10, first 2 shown]
	v_add_f64 v[48:49], v[24:25], -v[168:169]
	s_barrier
	ds_write_b128 v171, v[104:107]
	ds_write_b128 v171, v[88:91] offset:7680
	ds_write_b128 v171, v[108:111] offset:2048
	;; [unrolled: 1-line block ×5, first 2 shown]
	ds_write_b128 v72, v[116:119]
	ds_write_b128 v72, v[100:103] offset:7680
	ds_write_b128 v171, v[84:87] offset:15872
	;; [unrolled: 1-line block ×7, first 2 shown]
	v_accvgpr_read_b32 v60, a254
	v_fma_f64 v[52:53], v[24:25], 2.0, -v[48:49]
	ds_write_b128 v60, v[64:67]
	ds_write_b128 v60, v[56:59] offset:7680
	v_accvgpr_read_b32 v56, a255
	ds_write_b128 v56, v[52:55] offset:30720
	ds_write_b128 v56, v[48:51] offset:38400
	buffer_load_dword v48, off, s[40:43], 0 offset:1184 ; 4-byte Folded Reload
	v_add_f64 v[40:41], v[20:21], -v[182:183]
	v_add_f64 v[42:43], v[22:23], -v[184:185]
	v_fma_f64 v[44:45], v[20:21], 2.0, -v[40:41]
	v_fma_f64 v[46:47], v[22:23], 2.0, -v[42:43]
	s_waitcnt vmcnt(0)
	ds_write_b128 v48, v[44:47] offset:30720
	ds_write_b128 v48, v[40:43] offset:38400
	buffer_load_dword v40, off, s[40:43], 0 offset:1164 ; 4-byte Folded Reload
	v_add_f64 v[32:33], v[16:17], -v[186:187]
	v_add_f64 v[34:35], v[18:19], -v[188:189]
	v_fma_f64 v[36:37], v[16:17], 2.0, -v[32:33]
	v_fma_f64 v[38:39], v[18:19], 2.0, -v[34:35]
	s_waitcnt vmcnt(0)
	ds_write_b128 v40, v[36:39] offset:30720
	ds_write_b128 v40, v[32:35] offset:38400
	buffer_load_dword v32, off, s[40:43], 0 offset:1144 ; 4-byte Folded Reload
	v_add_f64 v[24:25], v[12:13], -v[254:255]
	v_fma_f64 v[28:29], v[12:13], 2.0, -v[24:25]
	v_fma_f64 v[30:31], v[14:15], 2.0, -v[26:27]
	s_waitcnt vmcnt(0)
	ds_write_b128 v32, v[28:31]
	ds_write_b128 v32, v[24:27] offset:7680
	buffer_load_dword v24, off, s[40:43], 0 offset:1124 ; 4-byte Folded Reload
	v_add_f64 v[16:17], v[8:9], -v[74:75]
	v_add_f64 v[18:19], v[10:11], -v[80:81]
	v_fma_f64 v[20:21], v[8:9], 2.0, -v[16:17]
	v_fma_f64 v[22:23], v[10:11], 2.0, -v[18:19]
	s_waitcnt vmcnt(0)
	ds_write_b128 v24, v[20:23] offset:46080
	ds_write_b128 v24, v[16:19] offset:53760
	buffer_load_dword v16, off, s[40:43], 0 offset:1112 ; 4-byte Folded Reload
	v_add_f64 v[8:9], v[4:5], -v[82:83]
	v_add_f64 v[10:11], v[6:7], -v[250:251]
	v_fma_f64 v[12:13], v[4:5], 2.0, -v[8:9]
	v_fma_f64 v[14:15], v[6:7], 2.0, -v[10:11]
	s_waitcnt vmcnt(0)
	ds_write_b128 v16, v[12:15] offset:46080
	ds_write_b128 v16, v[8:11] offset:53760
	buffer_load_dword v8, off, s[40:43], 0 offset:1120 ; 4-byte Folded Reload
	v_add_f64 v[4:5], v[0:1], -v[252:253]
	v_add_f64 v[6:7], v[2:3], -v[246:247]
	v_accvgpr_read_b32 v125, a51
	v_fma_f64 v[0:1], v[0:1], 2.0, -v[4:5]
	v_fma_f64 v[2:3], v[2:3], 2.0, -v[6:7]
	v_accvgpr_read_b32 v124, a50
	s_waitcnt vmcnt(0)
	ds_write_b128 v8, v[0:3] offset:46080
	ds_write_b128 v8, v[4:7] offset:53760
	s_waitcnt lgkmcnt(0)
	s_barrier
	ds_read_b128 v[56:59], v171
	ds_read_b128 v[116:119], v171 offset:30720
	ds_read_b128 v[52:55], v171 offset:2048
	ds_read_b128 v[112:115], v171 offset:32768
	ds_read_b128 v[48:51], v171 offset:4096
	ds_read_b128 v[108:111], v171 offset:34816
	ds_read_b128 v[44:47], v171 offset:6144
	ds_read_b128 v[104:107], v171 offset:36864
	ds_read_b128 v[40:43], v171 offset:8192
	ds_read_b128 v[100:103], v171 offset:38912
	ds_read_b128 v[36:39], v171 offset:10240
	ds_read_b128 v[96:99], v171 offset:40960
	ds_read_b128 v[32:35], v171 offset:12288
	ds_read_b128 v[92:95], v171 offset:43008
	ds_read_b128 v[28:31], v171 offset:14336
	ds_read_b128 v[88:91], v171 offset:45056
	ds_read_b128 v[24:27], v171 offset:16384
	ds_read_b128 v[84:87], v171 offset:47104
	ds_read_b128 v[20:23], v171 offset:18432
	ds_read_b128 v[80:83], v171 offset:49152
	ds_read_b128 v[16:19], v171 offset:20480
	ds_read_b128 v[76:79], v171 offset:51200
	ds_read_b128 v[12:15], v171 offset:22528
	ds_read_b128 v[72:75], v171 offset:53248
	ds_read_b128 v[8:11], v171 offset:24576
	ds_read_b128 v[68:71], v171 offset:55296
	ds_read_b128 v[4:7], v171 offset:26624
	ds_read_b128 v[64:67], v171 offset:57344
	ds_read_b128 v[0:3], v171 offset:28672
	ds_read_b128 v[60:63], v171 offset:59392
	v_accvgpr_read_b32 v123, a49
	v_accvgpr_read_b32 v122, a48
	s_waitcnt lgkmcnt(14)
	v_mul_f64 v[120:121], v[124:125], v[118:119]
	v_fmac_f64_e32 v[120:121], v[122:123], v[116:117]
	v_mul_f64 v[116:117], v[124:125], v[116:117]
	v_fma_f64 v[116:117], v[122:123], v[118:119], -v[116:117]
	v_accvgpr_read_b32 v125, a43
	v_accvgpr_read_b32 v124, a42
	v_accvgpr_read_b32 v123, a41
	v_accvgpr_read_b32 v122, a40
	v_mul_f64 v[118:119], v[124:125], v[114:115]
	v_fmac_f64_e32 v[118:119], v[122:123], v[112:113]
	v_mul_f64 v[112:113], v[124:125], v[112:113]
	v_fma_f64 v[112:113], v[122:123], v[114:115], -v[112:113]
	v_accvgpr_read_b32 v125, a47
	v_accvgpr_read_b32 v124, a46
	v_accvgpr_read_b32 v123, a45
	v_accvgpr_read_b32 v122, a44
	;; [unrolled: 8-line block ×6, first 2 shown]
	v_mul_f64 v[98:99], v[124:125], v[94:95]
	v_fmac_f64_e32 v[98:99], v[122:123], v[92:93]
	v_mul_f64 v[92:93], v[124:125], v[92:93]
	v_accvgpr_read_b32 v127, a21
	v_accvgpr_read_b32 v126, a20
	v_fma_f64 v[92:93], v[122:123], v[94:95], -v[92:93]
	v_accvgpr_read_b32 v125, a19
	v_accvgpr_read_b32 v124, a18
	v_mul_f64 v[122:123], v[126:127], v[90:91]
	s_waitcnt lgkmcnt(10)
	v_mul_f64 v[130:131], v[240:241], v[82:83]
	v_fmac_f64_e32 v[122:123], v[124:125], v[88:89]
	v_mul_f64 v[88:89], v[126:127], v[88:89]
	v_mul_f64 v[126:127], v[244:245], v[86:87]
	v_fmac_f64_e32 v[130:131], v[238:239], v[80:81]
	v_mul_f64 v[80:81], v[240:241], v[80:81]
	s_waitcnt lgkmcnt(6)
	v_mul_f64 v[138:139], v[232:233], v[74:75]
	v_fmac_f64_e32 v[126:127], v[242:243], v[84:85]
	v_mul_f64 v[84:85], v[244:245], v[84:85]
	v_fma_f64 v[132:133], v[238:239], v[82:83], -v[80:81]
	v_fmac_f64_e32 v[138:139], v[230:231], v[72:73]
	v_mul_f64 v[72:73], v[232:233], v[72:73]
	s_waitcnt lgkmcnt(4)
	v_mul_f64 v[166:167], v[228:229], v[70:71]
	s_waitcnt lgkmcnt(2)
	v_mul_f64 v[172:173], v[224:225], v[66:67]
	v_add_f64 v[80:81], v[36:37], -v[102:103]
	v_add_f64 v[82:83], v[38:39], -v[96:97]
	v_fma_f64 v[128:129], v[242:243], v[86:87], -v[84:85]
	v_mul_f64 v[134:135], v[236:237], v[78:79]
	v_fma_f64 v[164:165], v[230:231], v[74:75], -v[72:73]
	v_fmac_f64_e32 v[166:167], v[226:227], v[68:69]
	v_mul_f64 v[68:69], v[228:229], v[68:69]
	v_fmac_f64_e32 v[172:173], v[222:223], v[64:65]
	v_mul_f64 v[64:65], v[224:225], v[64:65]
	v_fma_f64 v[84:85], v[36:37], 2.0, -v[80:81]
	v_fma_f64 v[86:87], v[38:39], 2.0, -v[82:83]
	v_add_f64 v[36:37], v[20:21], -v[130:131]
	v_add_f64 v[38:39], v[22:23], -v[132:133]
	v_fma_f64 v[124:125], v[124:125], v[90:91], -v[88:89]
	v_fmac_f64_e32 v[134:135], v[234:235], v[76:77]
	v_mul_f64 v[76:77], v[236:237], v[76:77]
	v_fma_f64 v[168:169], v[226:227], v[70:71], -v[68:69]
	v_fma_f64 v[182:183], v[222:223], v[66:67], -v[64:65]
	s_waitcnt lgkmcnt(0)
	v_mul_f64 v[184:185], v[220:221], v[62:63]
	v_add_f64 v[66:67], v[54:55], -v[112:113]
	v_add_f64 v[68:69], v[48:49], -v[114:115]
	;; [unrolled: 1-line block ×4, first 2 shown]
	v_fma_f64 v[112:113], v[20:21], 2.0, -v[36:37]
	v_fma_f64 v[114:115], v[22:23], 2.0, -v[38:39]
	v_add_f64 v[20:21], v[12:13], -v[138:139]
	v_add_f64 v[22:23], v[14:15], -v[164:165]
	v_fma_f64 v[136:137], v[234:235], v[78:79], -v[76:77]
	v_fmac_f64_e32 v[184:185], v[218:219], v[60:61]
	v_mul_f64 v[60:61], v[220:221], v[60:61]
	v_add_f64 v[74:75], v[46:47], -v[104:105]
	v_add_f64 v[76:77], v[40:41], -v[106:107]
	v_fma_f64 v[92:93], v[32:33], 2.0, -v[88:89]
	v_fma_f64 v[94:95], v[34:35], 2.0, -v[90:91]
	v_add_f64 v[96:97], v[28:29], -v[122:123]
	v_add_f64 v[98:99], v[30:31], -v[124:125]
	;; [unrolled: 1-line block ×4, first 2 shown]
	v_fma_f64 v[32:33], v[12:13], 2.0, -v[20:21]
	v_fma_f64 v[34:35], v[14:15], 2.0, -v[22:23]
	v_add_f64 v[12:13], v[8:9], -v[166:167]
	v_add_f64 v[14:15], v[10:11], -v[168:169]
	v_fma_f64 v[186:187], v[218:219], v[62:63], -v[60:61]
	v_add_f64 v[60:61], v[56:57], -v[120:121]
	v_add_f64 v[62:63], v[58:59], -v[116:117]
	;; [unrolled: 1-line block ×5, first 2 shown]
	v_fma_f64 v[100:101], v[28:29], 2.0, -v[96:97]
	v_fma_f64 v[102:103], v[30:31], 2.0, -v[98:99]
	;; [unrolled: 1-line block ×4, first 2 shown]
	v_add_f64 v[28:29], v[16:17], -v[134:135]
	v_add_f64 v[30:31], v[18:19], -v[136:137]
	v_fma_f64 v[24:25], v[8:9], 2.0, -v[12:13]
	v_fma_f64 v[26:27], v[10:11], 2.0, -v[14:15]
	v_add_f64 v[8:9], v[4:5], -v[172:173]
	v_add_f64 v[10:11], v[6:7], -v[182:183]
	v_fma_f64 v[56:57], v[56:57], 2.0, -v[60:61]
	v_fma_f64 v[58:59], v[58:59], 2.0, -v[62:63]
	v_add_f64 v[64:65], v[52:53], -v[118:119]
	v_fma_f64 v[40:41], v[40:41], 2.0, -v[76:77]
	v_fma_f64 v[116:117], v[16:17], 2.0, -v[28:29]
	;; [unrolled: 1-line block ×5, first 2 shown]
	v_add_f64 v[4:5], v[0:1], -v[184:185]
	v_add_f64 v[6:7], v[2:3], -v[186:187]
	v_fma_f64 v[52:53], v[52:53], 2.0, -v[64:65]
	v_fma_f64 v[54:55], v[54:55], 2.0, -v[66:67]
	;; [unrolled: 1-line block ×9, first 2 shown]
	s_barrier
	ds_write_b128 v171, v[56:59]
	ds_write_b128 v171, v[60:63] offset:15360
	ds_write_b128 v171, v[52:55] offset:2048
	;; [unrolled: 1-line block ×13, first 2 shown]
	v_accvgpr_read_b32 v40, a140
	ds_write_b128 v40, v[100:103]
	ds_write_b128 v40, v[96:99] offset:15360
	ds_write_b128 v171, v[108:111] offset:31744
	;; [unrolled: 1-line block ×15, first 2 shown]
	s_waitcnt lgkmcnt(0)
	s_barrier
	ds_read_b128 v[20:23], v171
	ds_read_b128 v[60:63], v171 offset:30720
	ds_read_b128 v[32:35], v171 offset:2048
	;; [unrolled: 1-line block ×29, first 2 shown]
	s_waitcnt lgkmcnt(14)
	v_mul_f64 v[120:121], v[216:217], v[62:63]
	v_fmac_f64_e32 v[120:121], v[214:215], v[60:61]
	v_mul_f64 v[60:61], v[216:217], v[60:61]
	v_fma_f64 v[62:63], v[214:215], v[62:63], -v[60:61]
	v_mul_f64 v[60:61], v[212:213], v[64:65]
	v_mul_f64 v[122:123], v[212:213], v[66:67]
	v_fma_f64 v[66:67], v[210:211], v[66:67], -v[60:61]
	v_mul_f64 v[124:125], v[208:209], v[78:79]
	v_mul_f64 v[60:61], v[208:209], v[76:77]
	v_fmac_f64_e32 v[124:125], v[206:207], v[76:77]
	v_fma_f64 v[76:77], v[206:207], v[78:79], -v[60:61]
	v_mul_f64 v[78:79], v[204:205], v[94:95]
	v_mul_f64 v[60:61], v[204:205], v[92:93]
	v_fmac_f64_e32 v[78:79], v[202:203], v[92:93]
	;; [unrolled: 4-line block ×6, first 2 shown]
	v_fma_f64 v[116:117], v[178:179], v[118:119], -v[60:61]
	s_waitcnt lgkmcnt(12)
	v_mul_f64 v[118:119], v[176:177], v[102:103]
	v_mul_f64 v[60:61], v[176:177], v[100:101]
	v_fmac_f64_e32 v[118:119], v[174:175], v[100:101]
	v_fma_f64 v[100:101], v[174:175], v[102:103], -v[60:61]
	s_waitcnt lgkmcnt(10)
	v_mul_f64 v[60:61], v[162:163], v[96:97]
	v_mul_f64 v[102:103], v[162:163], v[98:99]
	v_fma_f64 v[98:99], v[160:161], v[98:99], -v[60:61]
	s_waitcnt lgkmcnt(8)
	v_mul_f64 v[60:61], v[158:159], v[88:89]
	v_fma_f64 v[128:129], v[156:157], v[90:91], -v[60:61]
	s_waitcnt lgkmcnt(6)
	v_mul_f64 v[60:61], v[154:155], v[84:85]
	v_fma_f64 v[132:133], v[152:153], v[86:87], -v[60:61]
	s_waitcnt lgkmcnt(4)
	v_mul_f64 v[60:61], v[150:151], v[80:81]
	v_fma_f64 v[136:137], v[148:149], v[82:83], -v[60:61]
	s_waitcnt lgkmcnt(2)
	v_mul_f64 v[138:139], v[146:147], v[74:75]
	v_mul_f64 v[60:61], v[146:147], v[72:73]
	;; [unrolled: 1-line block ×3, first 2 shown]
	v_fmac_f64_e32 v[138:139], v[144:145], v[72:73]
	v_fma_f64 v[144:145], v[144:145], v[74:75], -v[60:61]
	s_waitcnt lgkmcnt(0)
	v_mul_f64 v[146:147], v[142:143], v[70:71]
	v_mul_f64 v[60:61], v[142:143], v[68:69]
	;; [unrolled: 1-line block ×4, first 2 shown]
	v_fmac_f64_e32 v[134:135], v[148:149], v[80:81]
	v_fmac_f64_e32 v[146:147], v[140:141], v[68:69]
	v_fma_f64 v[140:141], v[140:141], v[70:71], -v[60:61]
	v_fmac_f64_e32 v[122:123], v[210:211], v[64:65]
	v_fmac_f64_e32 v[102:103], v[160:161], v[96:97]
	;; [unrolled: 1-line block ×4, first 2 shown]
	v_add_f64 v[60:61], v[20:21], -v[120:121]
	v_add_f64 v[62:63], v[22:23], -v[62:63]
	;; [unrolled: 1-line block ×11, first 2 shown]
	v_fma_f64 v[20:21], v[20:21], 2.0, -v[60:61]
	v_fma_f64 v[22:23], v[22:23], 2.0, -v[62:63]
	v_add_f64 v[64:65], v[32:33], -v[122:123]
	v_add_f64 v[66:67], v[34:35], -v[66:67]
	;; [unrolled: 1-line block ×18, first 2 shown]
	v_fma_f64 v[8:9], v[8:9], 2.0, -v[108:109]
	v_add_f64 v[112:113], v[4:5], -v[138:139]
	v_fma_f64 v[6:7], v[6:7], 2.0, -v[114:115]
	v_fma_f64 v[0:1], v[0:1], 2.0, -v[116:117]
	;; [unrolled: 1-line block ×27, first 2 shown]
	ds_write_b128 v171, v[20:23]
	ds_write_b128 v171, v[60:63] offset:30720
	ds_write_b128 v171, v[32:35] offset:2048
	;; [unrolled: 1-line block ×29, first 2 shown]
	s_waitcnt lgkmcnt(0)
	s_barrier
	ds_read_b128 v[0:3], v171
	buffer_load_dword v6, off, s[40:43], 0 offset:28 ; 4-byte Folded Reload
	buffer_load_dword v7, off, s[40:43], 0 offset:32 ; 4-byte Folded Reload
	;; [unrolled: 1-line block ×3, first 2 shown]
	s_waitcnt vmcnt(0)
	v_accvgpr_read_b32 v9, a23              ;  Reload Reuse
	s_waitcnt lgkmcnt(0)
	v_mul_f64 v[4:5], v[8:9], v[2:3]
	v_fmac_f64_e32 v[4:5], v[6:7], v[0:1]
	v_mul_f64 v[0:1], v[8:9], v[0:1]
	v_fma_f64 v[0:1], v[6:7], v[2:3], -v[0:1]
	v_accvgpr_read_b32 v3, a0
	v_mul_f64 v[6:7], v[0:1], s[2:3]
	v_mad_u64_u32 v[0:1], s[4:5], s0, v3, 0
	v_mov_b32_e32 v2, v1
	v_mad_u64_u32 v[2:3], s[4:5], s1, v3, v[2:3]
	v_mov_b32_e32 v1, v2
	v_accvgpr_read_b32 v2, a22              ;  Reload Reuse
	v_accvgpr_read_b32 v3, a1               ;  Reload Reuse
	v_lshlrev_b64 v[2:3], 4, v[2:3]
	v_add_co_u32_e32 v2, vcc, s12, v2
	v_mov_b32_e32 v8, s13
	v_addc_co_u32_e32 v3, vcc, v8, v3, vcc
	v_lshlrev_b64 v[0:1], 4, v[0:1]
	v_add_co_u32_e32 v8, vcc, v2, v0
	v_mul_f64 v[4:5], v[4:5], s[2:3]
	v_addc_co_u32_e32 v9, vcc, v3, v1, vcc
	global_store_dwordx4 v[8:9], v[4:7], off
	ds_read_b128 v[0:3], v171 offset:6144
	buffer_load_dword v10, off, s[40:43], 0 offset:76 ; 4-byte Folded Reload
	buffer_load_dword v11, off, s[40:43], 0 offset:80 ; 4-byte Folded Reload
	;; [unrolled: 1-line block ×4, first 2 shown]
	v_mad_u64_u32 v[8:9], s[4:5], s0, v170, v[8:9]
	s_mul_i32 s4, s1, 0x1800
	v_add_u32_e32 v9, s4, v9
	s_mul_i32 s1, s1, 0xffff3000
	s_sub_i32 s1, s1, s0
	s_waitcnt vmcnt(0) lgkmcnt(0)
	v_mul_f64 v[4:5], v[12:13], v[2:3]
	v_fmac_f64_e32 v[4:5], v[10:11], v[0:1]
	v_mul_f64 v[0:1], v[12:13], v[0:1]
	v_fma_f64 v[0:1], v[10:11], v[2:3], -v[0:1]
	v_mul_f64 v[4:5], v[4:5], s[2:3]
	v_mul_f64 v[6:7], v[0:1], s[2:3]
	global_store_dwordx4 v[8:9], v[4:7], off
	ds_read_b128 v[0:3], v171 offset:12288
	buffer_load_dword v10, off, s[40:43], 0 offset:152 ; 4-byte Folded Reload
	buffer_load_dword v11, off, s[40:43], 0 offset:156 ; 4-byte Folded Reload
	buffer_load_dword v12, off, s[40:43], 0 offset:160 ; 4-byte Folded Reload
	buffer_load_dword v13, off, s[40:43], 0 offset:164 ; 4-byte Folded Reload
	v_mad_u64_u32 v[8:9], s[6:7], s0, v170, v[8:9]
	v_add_u32_e32 v9, s4, v9
	s_waitcnt vmcnt(0) lgkmcnt(0)
	v_mul_f64 v[4:5], v[12:13], v[2:3]
	v_fmac_f64_e32 v[4:5], v[10:11], v[0:1]
	v_mul_f64 v[0:1], v[12:13], v[0:1]
	v_fma_f64 v[0:1], v[10:11], v[2:3], -v[0:1]
	v_mul_f64 v[4:5], v[4:5], s[2:3]
	v_mul_f64 v[6:7], v[0:1], s[2:3]
	global_store_dwordx4 v[8:9], v[4:7], off
	ds_read_b128 v[0:3], v171 offset:18432
	buffer_load_dword v10, off, s[40:43], 0 offset:204 ; 4-byte Folded Reload
	buffer_load_dword v11, off, s[40:43], 0 offset:208 ; 4-byte Folded Reload
	buffer_load_dword v12, off, s[40:43], 0 offset:212 ; 4-byte Folded Reload
	buffer_load_dword v13, off, s[40:43], 0 offset:216 ; 4-byte Folded Reload
	v_mad_u64_u32 v[8:9], s[6:7], s0, v170, v[8:9]
	v_add_u32_e32 v9, s4, v9
	;; [unrolled: 15-line block ×7, first 2 shown]
	s_waitcnt vmcnt(0) lgkmcnt(0)
	v_mul_f64 v[4:5], v[12:13], v[2:3]
	v_fmac_f64_e32 v[4:5], v[10:11], v[0:1]
	v_mul_f64 v[0:1], v[12:13], v[0:1]
	v_fma_f64 v[0:1], v[10:11], v[2:3], -v[0:1]
	v_mul_f64 v[4:5], v[4:5], s[2:3]
	v_mul_f64 v[6:7], v[0:1], s[2:3]
	global_store_dwordx4 v[8:9], v[4:7], off
	ds_read_b128 v[0:3], v171 offset:55296
	buffer_load_dword v10, off, s[40:43], 0 offset:460 ; 4-byte Folded Reload
	buffer_load_dword v11, off, s[40:43], 0 offset:464 ; 4-byte Folded Reload
	;; [unrolled: 1-line block ×4, first 2 shown]
	s_waitcnt vmcnt(0) lgkmcnt(0)
	v_mul_f64 v[4:5], v[12:13], v[2:3]
	v_fmac_f64_e32 v[4:5], v[10:11], v[0:1]
	v_mul_f64 v[0:1], v[12:13], v[0:1]
	v_fma_f64 v[0:1], v[10:11], v[2:3], -v[0:1]
	v_mul_f64 v[6:7], v[0:1], s[2:3]
	v_mad_u64_u32 v[0:1], s[6:7], s0, v170, v[8:9]
	v_mul_f64 v[4:5], v[4:5], s[2:3]
	v_add_u32_e32 v1, s4, v1
	global_store_dwordx4 v[0:1], v[4:7], off
	ds_read_b128 v[2:5], v171 offset:2048
	buffer_load_dword v8, off, s[40:43], 0 offset:52 ; 4-byte Folded Reload
	buffer_load_dword v9, off, s[40:43], 0 offset:56 ; 4-byte Folded Reload
	buffer_load_dword v10, off, s[40:43], 0 offset:60 ; 4-byte Folded Reload
	buffer_load_dword v11, off, s[40:43], 0 offset:64 ; 4-byte Folded Reload
	v_mov_b32_e32 v12, 0xffff3000
	s_waitcnt vmcnt(0) lgkmcnt(0)
	v_mul_f64 v[6:7], v[10:11], v[4:5]
	v_fmac_f64_e32 v[6:7], v[8:9], v[2:3]
	v_mul_f64 v[2:3], v[10:11], v[2:3]
	v_fma_f64 v[2:3], v[8:9], v[4:5], -v[2:3]
	v_mad_u64_u32 v[10:11], s[6:7], s0, v12, v[0:1]
	v_mul_f64 v[6:7], v[6:7], s[2:3]
	v_mul_f64 v[8:9], v[2:3], s[2:3]
	v_add_u32_e32 v11, s1, v11
	global_store_dwordx4 v[10:11], v[6:9], off
	ds_read_b128 v[0:3], v171 offset:8192
	buffer_load_dword v6, off, s[40:43], 0 offset:92 ; 4-byte Folded Reload
	buffer_load_dword v7, off, s[40:43], 0 offset:96 ; 4-byte Folded Reload
	;; [unrolled: 1-line block ×4, first 2 shown]
	s_waitcnt vmcnt(0) lgkmcnt(0)
	v_mul_f64 v[4:5], v[8:9], v[2:3]
	v_fmac_f64_e32 v[4:5], v[6:7], v[0:1]
	v_mul_f64 v[0:1], v[8:9], v[0:1]
	v_fma_f64 v[0:1], v[6:7], v[2:3], -v[0:1]
	v_mad_u64_u32 v[8:9], s[6:7], s0, v170, v[10:11]
	v_mul_f64 v[4:5], v[4:5], s[2:3]
	v_mul_f64 v[6:7], v[0:1], s[2:3]
	v_add_u32_e32 v9, s4, v9
	global_store_dwordx4 v[8:9], v[4:7], off
	ds_read_b128 v[0:3], v171 offset:14336
	buffer_load_dword v14, off, s[40:43], 0 offset:128 ; 4-byte Folded Reload
	buffer_load_dword v15, off, s[40:43], 0 offset:132 ; 4-byte Folded Reload
	buffer_load_dword v16, off, s[40:43], 0 offset:136 ; 4-byte Folded Reload
	buffer_load_dword v17, off, s[40:43], 0 offset:140 ; 4-byte Folded Reload
	v_mad_u64_u32 v[8:9], s[6:7], s0, v170, v[8:9]
	v_add_u32_e32 v9, s4, v9
	s_waitcnt vmcnt(0) lgkmcnt(0)
	v_mul_f64 v[4:5], v[16:17], v[2:3]
	v_fmac_f64_e32 v[4:5], v[14:15], v[0:1]
	v_mul_f64 v[0:1], v[16:17], v[0:1]
	v_fma_f64 v[0:1], v[14:15], v[2:3], -v[0:1]
	v_mul_f64 v[4:5], v[4:5], s[2:3]
	v_mul_f64 v[6:7], v[0:1], s[2:3]
	global_store_dwordx4 v[8:9], v[4:7], off
	ds_read_b128 v[0:3], v171 offset:20480
	buffer_load_dword v14, off, s[40:43], 0 offset:404 ; 4-byte Folded Reload
	buffer_load_dword v15, off, s[40:43], 0 offset:408 ; 4-byte Folded Reload
	buffer_load_dword v16, off, s[40:43], 0 offset:412 ; 4-byte Folded Reload
	buffer_load_dword v17, off, s[40:43], 0 offset:416 ; 4-byte Folded Reload
	v_mad_u64_u32 v[8:9], s[6:7], s0, v170, v[8:9]
	v_add_u32_e32 v9, s4, v9
	s_waitcnt vmcnt(0) lgkmcnt(0)
	v_mul_f64 v[4:5], v[16:17], v[2:3]
	v_fmac_f64_e32 v[4:5], v[14:15], v[0:1]
	v_mul_f64 v[0:1], v[16:17], v[0:1]
	v_fma_f64 v[0:1], v[14:15], v[2:3], -v[0:1]
	v_mul_f64 v[4:5], v[4:5], s[2:3]
	v_mul_f64 v[6:7], v[0:1], s[2:3]
	;; [unrolled: 15-line block ×7, first 2 shown]
	global_store_dwordx4 v[8:9], v[4:7], off
	ds_read_b128 v[0:3], v171 offset:57344
	buffer_load_dword v14, off, s[40:43], 0 offset:568 ; 4-byte Folded Reload
	buffer_load_dword v15, off, s[40:43], 0 offset:572 ; 4-byte Folded Reload
	;; [unrolled: 1-line block ×4, first 2 shown]
	s_waitcnt vmcnt(0) lgkmcnt(0)
	v_mul_f64 v[4:5], v[16:17], v[2:3]
	v_fmac_f64_e32 v[4:5], v[14:15], v[0:1]
	v_mul_f64 v[0:1], v[16:17], v[0:1]
	v_fma_f64 v[0:1], v[14:15], v[2:3], -v[0:1]
	v_mul_f64 v[6:7], v[0:1], s[2:3]
	v_mad_u64_u32 v[0:1], s[6:7], s0, v170, v[8:9]
	v_mul_f64 v[4:5], v[4:5], s[2:3]
	v_add_u32_e32 v1, s4, v1
	global_store_dwordx4 v[0:1], v[4:7], off
	ds_read_b128 v[2:5], v171 offset:4096
	buffer_load_dword v8, off, s[40:43], 0 offset:308 ; 4-byte Folded Reload
	buffer_load_dword v9, off, s[40:43], 0 offset:312 ; 4-byte Folded Reload
	;; [unrolled: 1-line block ×4, first 2 shown]
	s_waitcnt vmcnt(0) lgkmcnt(0)
	v_mul_f64 v[6:7], v[10:11], v[4:5]
	v_fmac_f64_e32 v[6:7], v[8:9], v[2:3]
	v_mul_f64 v[2:3], v[10:11], v[2:3]
	v_fma_f64 v[2:3], v[8:9], v[4:5], -v[2:3]
	v_mad_u64_u32 v[10:11], s[6:7], s0, v12, v[0:1]
	v_mul_f64 v[6:7], v[6:7], s[2:3]
	v_mul_f64 v[8:9], v[2:3], s[2:3]
	v_add_u32_e32 v11, s1, v11
	global_store_dwordx4 v[10:11], v[6:9], off
	ds_read_b128 v[0:3], v171 offset:10240
	buffer_load_dword v6, off, s[40:43], 0 offset:356 ; 4-byte Folded Reload
	buffer_load_dword v7, off, s[40:43], 0 offset:360 ; 4-byte Folded Reload
	;; [unrolled: 1-line block ×4, first 2 shown]
	s_waitcnt vmcnt(0) lgkmcnt(0)
	v_mul_f64 v[4:5], v[8:9], v[2:3]
	v_fmac_f64_e32 v[4:5], v[6:7], v[0:1]
	v_mul_f64 v[0:1], v[8:9], v[0:1]
	v_fma_f64 v[0:1], v[6:7], v[2:3], -v[0:1]
	v_mad_u64_u32 v[8:9], s[6:7], s0, v170, v[10:11]
	v_mul_f64 v[4:5], v[4:5], s[2:3]
	v_mul_f64 v[6:7], v[0:1], s[2:3]
	v_add_u32_e32 v9, s4, v9
	global_store_dwordx4 v[8:9], v[4:7], off
	ds_read_b128 v[0:3], v171 offset:16384
	buffer_load_dword v10, off, s[40:43], 0 offset:268 ; 4-byte Folded Reload
	buffer_load_dword v11, off, s[40:43], 0 offset:272 ; 4-byte Folded Reload
	buffer_load_dword v12, off, s[40:43], 0 offset:276 ; 4-byte Folded Reload
	buffer_load_dword v13, off, s[40:43], 0 offset:280 ; 4-byte Folded Reload
	v_mad_u64_u32 v[8:9], s[6:7], s0, v170, v[8:9]
	v_add_u32_e32 v9, s4, v9
	s_waitcnt vmcnt(0) lgkmcnt(0)
	v_mul_f64 v[4:5], v[12:13], v[2:3]
	v_fmac_f64_e32 v[4:5], v[10:11], v[0:1]
	v_mul_f64 v[0:1], v[12:13], v[0:1]
	v_fma_f64 v[0:1], v[10:11], v[2:3], -v[0:1]
	v_mul_f64 v[4:5], v[4:5], s[2:3]
	v_mul_f64 v[6:7], v[0:1], s[2:3]
	global_store_dwordx4 v[8:9], v[4:7], off
	ds_read_b128 v[0:3], v171 offset:22528
	buffer_load_dword v10, off, s[40:43], 0 offset:340 ; 4-byte Folded Reload
	buffer_load_dword v11, off, s[40:43], 0 offset:344 ; 4-byte Folded Reload
	buffer_load_dword v12, off, s[40:43], 0 offset:348 ; 4-byte Folded Reload
	buffer_load_dword v13, off, s[40:43], 0 offset:352 ; 4-byte Folded Reload
	v_mad_u64_u32 v[8:9], s[6:7], s0, v170, v[8:9]
	v_add_u32_e32 v9, s4, v9
	s_waitcnt vmcnt(0) lgkmcnt(0)
	v_mul_f64 v[4:5], v[12:13], v[2:3]
	v_fmac_f64_e32 v[4:5], v[10:11], v[0:1]
	v_mul_f64 v[0:1], v[12:13], v[0:1]
	v_fma_f64 v[0:1], v[10:11], v[2:3], -v[0:1]
	v_mul_f64 v[4:5], v[4:5], s[2:3]
	v_mul_f64 v[6:7], v[0:1], s[2:3]
	;; [unrolled: 15-line block ×7, first 2 shown]
	global_store_dwordx4 v[8:9], v[4:7], off
	ds_read_b128 v[0:3], v171 offset:59392
	buffer_load_dword v10, off, s[40:43], 0 offset:112 ; 4-byte Folded Reload
	buffer_load_dword v11, off, s[40:43], 0 offset:116 ; 4-byte Folded Reload
	;; [unrolled: 1-line block ×4, first 2 shown]
	s_waitcnt vmcnt(0) lgkmcnt(0)
	v_mul_f64 v[4:5], v[12:13], v[2:3]
	v_fmac_f64_e32 v[4:5], v[10:11], v[0:1]
	v_mul_f64 v[0:1], v[12:13], v[0:1]
	v_fma_f64 v[0:1], v[10:11], v[2:3], -v[0:1]
	v_mul_f64 v[6:7], v[0:1], s[2:3]
	v_mad_u64_u32 v[0:1], s[0:1], s0, v170, v[8:9]
	v_mul_f64 v[4:5], v[4:5], s[2:3]
	v_add_u32_e32 v1, s4, v1
	global_store_dwordx4 v[0:1], v[4:7], off
.LBB0_2:
	s_endpgm
	.section	.rodata,"a",@progbits
	.p2align	6, 0x0
	.amdhsa_kernel bluestein_single_fwd_len3840_dim1_dp_op_CI_CI
		.amdhsa_group_segment_fixed_size 61440
		.amdhsa_private_segment_fixed_size 1208
		.amdhsa_kernarg_size 104
		.amdhsa_user_sgpr_count 6
		.amdhsa_user_sgpr_private_segment_buffer 1
		.amdhsa_user_sgpr_dispatch_ptr 0
		.amdhsa_user_sgpr_queue_ptr 0
		.amdhsa_user_sgpr_kernarg_segment_ptr 1
		.amdhsa_user_sgpr_dispatch_id 0
		.amdhsa_user_sgpr_flat_scratch_init 0
		.amdhsa_user_sgpr_kernarg_preload_length 0
		.amdhsa_user_sgpr_kernarg_preload_offset 0
		.amdhsa_user_sgpr_private_segment_size 0
		.amdhsa_uses_dynamic_stack 0
		.amdhsa_system_sgpr_private_segment_wavefront_offset 1
		.amdhsa_system_sgpr_workgroup_id_x 1
		.amdhsa_system_sgpr_workgroup_id_y 0
		.amdhsa_system_sgpr_workgroup_id_z 0
		.amdhsa_system_sgpr_workgroup_info 0
		.amdhsa_system_vgpr_workitem_id 0
		.amdhsa_next_free_vgpr 512
		.amdhsa_next_free_sgpr 44
		.amdhsa_accum_offset 256
		.amdhsa_reserve_vcc 1
		.amdhsa_reserve_flat_scratch 0
		.amdhsa_float_round_mode_32 0
		.amdhsa_float_round_mode_16_64 0
		.amdhsa_float_denorm_mode_32 3
		.amdhsa_float_denorm_mode_16_64 3
		.amdhsa_dx10_clamp 1
		.amdhsa_ieee_mode 1
		.amdhsa_fp16_overflow 0
		.amdhsa_tg_split 0
		.amdhsa_exception_fp_ieee_invalid_op 0
		.amdhsa_exception_fp_denorm_src 0
		.amdhsa_exception_fp_ieee_div_zero 0
		.amdhsa_exception_fp_ieee_overflow 0
		.amdhsa_exception_fp_ieee_underflow 0
		.amdhsa_exception_fp_ieee_inexact 0
		.amdhsa_exception_int_div_zero 0
	.end_amdhsa_kernel
	.text
.Lfunc_end0:
	.size	bluestein_single_fwd_len3840_dim1_dp_op_CI_CI, .Lfunc_end0-bluestein_single_fwd_len3840_dim1_dp_op_CI_CI
                                        ; -- End function
	.section	.AMDGPU.csdata,"",@progbits
; Kernel info:
; codeLenInByte = 50012
; NumSgprs: 48
; NumVgprs: 256
; NumAgprs: 256
; TotalNumVgprs: 512
; ScratchSize: 1208
; MemoryBound: 0
; FloatMode: 240
; IeeeMode: 1
; LDSByteSize: 61440 bytes/workgroup (compile time only)
; SGPRBlocks: 5
; VGPRBlocks: 63
; NumSGPRsForWavesPerEU: 48
; NumVGPRsForWavesPerEU: 512
; AccumOffset: 256
; Occupancy: 1
; WaveLimiterHint : 1
; COMPUTE_PGM_RSRC2:SCRATCH_EN: 1
; COMPUTE_PGM_RSRC2:USER_SGPR: 6
; COMPUTE_PGM_RSRC2:TRAP_HANDLER: 0
; COMPUTE_PGM_RSRC2:TGID_X_EN: 1
; COMPUTE_PGM_RSRC2:TGID_Y_EN: 0
; COMPUTE_PGM_RSRC2:TGID_Z_EN: 0
; COMPUTE_PGM_RSRC2:TIDIG_COMP_CNT: 0
; COMPUTE_PGM_RSRC3_GFX90A:ACCUM_OFFSET: 63
; COMPUTE_PGM_RSRC3_GFX90A:TG_SPLIT: 0
	.text
	.p2alignl 6, 3212836864
	.fill 256, 4, 3212836864
	.type	__hip_cuid_d8270160086d68f5,@object ; @__hip_cuid_d8270160086d68f5
	.section	.bss,"aw",@nobits
	.globl	__hip_cuid_d8270160086d68f5
__hip_cuid_d8270160086d68f5:
	.byte	0                               ; 0x0
	.size	__hip_cuid_d8270160086d68f5, 1

	.ident	"AMD clang version 19.0.0git (https://github.com/RadeonOpenCompute/llvm-project roc-6.4.0 25133 c7fe45cf4b819c5991fe208aaa96edf142730f1d)"
	.section	".note.GNU-stack","",@progbits
	.addrsig
	.addrsig_sym __hip_cuid_d8270160086d68f5
	.amdgpu_metadata
---
amdhsa.kernels:
  - .agpr_count:     256
    .args:
      - .actual_access:  read_only
        .address_space:  global
        .offset:         0
        .size:           8
        .value_kind:     global_buffer
      - .actual_access:  read_only
        .address_space:  global
        .offset:         8
        .size:           8
        .value_kind:     global_buffer
      - .actual_access:  read_only
        .address_space:  global
        .offset:         16
        .size:           8
        .value_kind:     global_buffer
      - .actual_access:  read_only
        .address_space:  global
        .offset:         24
        .size:           8
        .value_kind:     global_buffer
      - .actual_access:  read_only
        .address_space:  global
        .offset:         32
        .size:           8
        .value_kind:     global_buffer
      - .offset:         40
        .size:           8
        .value_kind:     by_value
      - .address_space:  global
        .offset:         48
        .size:           8
        .value_kind:     global_buffer
      - .address_space:  global
        .offset:         56
        .size:           8
        .value_kind:     global_buffer
      - .address_space:  global
        .offset:         64
        .size:           8
        .value_kind:     global_buffer
      - .address_space:  global
        .offset:         72
        .size:           8
        .value_kind:     global_buffer
      - .offset:         80
        .size:           4
        .value_kind:     by_value
      - .address_space:  global
        .offset:         88
        .size:           8
        .value_kind:     global_buffer
      - .address_space:  global
        .offset:         96
        .size:           8
        .value_kind:     global_buffer
    .group_segment_fixed_size: 61440
    .kernarg_segment_align: 8
    .kernarg_segment_size: 104
    .language:       OpenCL C
    .language_version:
      - 2
      - 0
    .max_flat_workgroup_size: 128
    .name:           bluestein_single_fwd_len3840_dim1_dp_op_CI_CI
    .private_segment_fixed_size: 1208
    .sgpr_count:     48
    .sgpr_spill_count: 0
    .symbol:         bluestein_single_fwd_len3840_dim1_dp_op_CI_CI.kd
    .uniform_work_group_size: 1
    .uses_dynamic_stack: false
    .vgpr_count:     512
    .vgpr_spill_count: 303
    .wavefront_size: 64
amdhsa.target:   amdgcn-amd-amdhsa--gfx90a
amdhsa.version:
  - 1
  - 2
...

	.end_amdgpu_metadata
